;; amdgpu-corpus repo=ROCm/Tensile kind=harvested arch=n/a opt=n/a

/******************************************/
/* Function Prefix                        */
/******************************************/



/******************************************/
/* Begin Kernel                           */
/******************************************/

// Component.Signature.SignatureDefault
.amdgcn_target "amdgcn-amd-amdhsa--gfx942"
.text
.protected Cijk_Ailk_Bjlk_F8B8B8S_BH_MT256x256x128_MI16x16x32x1_SN_1LDSB1_APM1_AF0EM16_AF1EM16_AMAS3_ASE_ASGT3512_ASLT_ASM_ASAE01_ASCE01_ASEM1_BL1_BS1_CLR1_DTVA0_DTVB0_ETSP_EPS1_ELFLR4_EMLL0_FSSC10_FL0_GLVWA16_GLVWB16_GRCGA1_GRPM1_GRVW16_GSU1_GSUASB_GLS0_IU1_K1_LBSPPA0_LBSPPB0_LPA0_LPB0_LRVW8_LWPMn1_MIAV0_MKFGSU256_NTA0_NTB0_NTC3_NTD3_NEPBS0_NLCA1_NLCB1_ONLL1_PGR2_PLR5_PKA0_SIA3_SLW1_SS1_SU0_SUM0_SUS0_SPO1_SRVW0_SSO0_SVW8_TSGRA0_TSGRB0_TT8_128_TLDS0_UMLDSA0_UMLDSB0_USFGROn1_VAW1_VSn1_VW8_VWB8_VFLRP1_WSGRA1_WSGRB1_WG32_8_1_WGM16
.globl Cijk_Ailk_Bjlk_F8B8B8S_BH_MT256x256x128_MI16x16x32x1_SN_1LDSB1_APM1_AF0EM16_AF1EM16_AMAS3_ASE_ASGT3512_ASLT_ASM_ASAE01_ASCE01_ASEM1_BL1_BS1_CLR1_DTVA0_DTVB0_ETSP_EPS1_ELFLR4_EMLL0_FSSC10_FL0_GLVWA16_GLVWB16_GRCGA1_GRPM1_GRVW16_GSU1_GSUASB_GLS0_IU1_K1_LBSPPA0_LBSPPB0_LPA0_LPB0_LRVW8_LWPMn1_MIAV0_MKFGSU256_NTA0_NTB0_NTC3_NTD3_NEPBS0_NLCA1_NLCB1_ONLL1_PGR2_PLR5_PKA0_SIA3_SLW1_SS1_SU0_SUM0_SUS0_SPO1_SRVW0_SSO0_SVW8_TSGRA0_TSGRB0_TT8_128_TLDS0_UMLDSA0_UMLDSB0_USFGROn1_VAW1_VSn1_VW8_VWB8_VFLRP1_WSGRA1_WSGRB1_WG32_8_1_WGM16
.p2align 8
.type Cijk_Ailk_Bjlk_F8B8B8S_BH_MT256x256x128_MI16x16x32x1_SN_1LDSB1_APM1_AF0EM16_AF1EM16_AMAS3_ASE_ASGT3512_ASLT_ASM_ASAE01_ASCE01_ASEM1_BL1_BS1_CLR1_DTVA0_DTVB0_ETSP_EPS1_ELFLR4_EMLL0_FSSC10_FL0_GLVWA16_GLVWB16_GRCGA1_GRPM1_GRVW16_GSU1_GSUASB_GLS0_IU1_K1_LBSPPA0_LBSPPB0_LPA0_LPB0_LRVW8_LWPMn1_MIAV0_MKFGSU256_NTA0_NTB0_NTC3_NTD3_NEPBS0_NLCA1_NLCB1_ONLL1_PGR2_PLR5_PKA0_SIA3_SLW1_SS1_SU0_SUM0_SUS0_SPO1_SRVW0_SSO0_SVW8_TSGRA0_TSGRB0_TT8_128_TLDS0_UMLDSA0_UMLDSB0_USFGROn1_VAW1_VSn1_VW8_VWB8_VFLRP1_WSGRA1_WSGRB1_WG32_8_1_WGM16,@function
.section .rodata,#alloc
.p2align 6
.amdhsa_kernel Cijk_Ailk_Bjlk_F8B8B8S_BH_MT256x256x128_MI16x16x32x1_SN_1LDSB1_APM1_AF0EM16_AF1EM16_AMAS3_ASE_ASGT3512_ASLT_ASM_ASAE01_ASCE01_ASEM1_BL1_BS1_CLR1_DTVA0_DTVB0_ETSP_EPS1_ELFLR4_EMLL0_FSSC10_FL0_GLVWA16_GLVWB16_GRCGA1_GRPM1_GRVW16_GSU1_GSUASB_GLS0_IU1_K1_LBSPPA0_LBSPPB0_LPA0_LPB0_LRVW8_LWPMn1_MIAV0_MKFGSU256_NTA0_NTB0_NTC3_NTD3_NEPBS0_NLCA1_NLCB1_ONLL1_PGR2_PLR5_PKA0_SIA3_SLW1_SS1_SU0_SUM0_SUS0_SPO1_SRVW0_SSO0_SVW8_TSGRA0_TSGRB0_TT8_128_TLDS0_UMLDSA0_UMLDSB0_USFGROn1_VAW1_VSn1_VW8_VWB8_VFLRP1_WSGRA1_WSGRB1_WG32_8_1_WGM16
  .amdhsa_user_sgpr_kernarg_segment_ptr 1
  .amdhsa_user_sgpr_kernarg_preload_offset 0
  .amdhsa_user_sgpr_kernarg_preload_length 0
  .amdhsa_user_sgpr_count 2
  .amdhsa_accum_offset 256 // accvgpr offset
  .amdhsa_next_free_vgpr 512 // vgprs
  .amdhsa_next_free_sgpr 76 // sgprs
  .amdhsa_group_segment_fixed_size 65536 // lds bytes
  .amdhsa_private_segment_fixed_size 0
  .amdhsa_system_sgpr_workgroup_id_x 1
  .amdhsa_system_sgpr_workgroup_id_y 1
  .amdhsa_system_sgpr_workgroup_id_z 1
  .amdhsa_system_vgpr_workitem_id 0
  .amdhsa_float_denorm_mode_32 3
  .amdhsa_float_denorm_mode_16_64 3
.end_amdhsa_kernel
.text

/******************************************/
/* Optimizations and Config:              */
/******************************************/
/* ThreadTile= 32 x 8 */
/* SubGroup= 8 x 32 */
/* VectorWidthA=8 */
/* VectorWidthB=8 */
/* GlobalLoadVectorWidthA=16, GlobalLoadVectorWidthB=16 */
/* DirectToLdsA=False */
/* DirectToLdsB=False */
/* UseSgprForGRO=1 */
.amdgpu_metadata
---
amdhsa.version:
  - 1
  - 1
amdhsa.target: amdgcn-amd-amdhsa--gfx942
amdhsa.kernels:
  - .name: Cijk_Ailk_Bjlk_F8B8B8S_BH_MT256x256x128_MI16x16x32x1_SN_1LDSB1_APM1_AF0EM16_AF1EM16_AMAS3_ASE_ASGT3512_ASLT_ASM_ASAE01_ASCE01_ASEM1_BL1_BS1_CLR1_DTVA0_DTVB0_ETSP_EPS1_ELFLR4_EMLL0_FSSC10_FL0_GLVWA16_GLVWB16_GRCGA1_GRPM1_GRVW16_GSU1_GSUASB_GLS0_IU1_K1_LBSPPA0_LBSPPB0_LPA0_LPB0_LRVW8_LWPMn1_MIAV0_MKFGSU256_NTA0_NTB0_NTC3_NTD3_NEPBS0_NLCA1_NLCB1_ONLL1_PGR2_PLR5_PKA0_SIA3_SLW1_SS1_SU0_SUM0_SUS0_SPO1_SRVW0_SSO0_SVW8_TSGRA0_TSGRB0_TT8_128_TLDS0_UMLDSA0_UMLDSB0_USFGROn1_VAW1_VSn1_VW8_VWB8_VFLRP1_WSGRA1_WSGRB1_WG32_8_1_WGM16
    .symbol: 'Cijk_Ailk_Bjlk_F8B8B8S_BH_MT256x256x128_MI16x16x32x1_SN_1LDSB1_APM1_AF0EM16_AF1EM16_AMAS3_ASE_ASGT3512_ASLT_ASM_ASAE01_ASCE01_ASEM1_BL1_BS1_CLR1_DTVA0_DTVB0_ETSP_EPS1_ELFLR4_EMLL0_FSSC10_FL0_GLVWA16_GLVWB16_GRCGA1_GRPM1_GRVW16_GSU1_GSUASB_GLS0_IU1_K1_LBSPPA0_LBSPPB0_LPA0_LPB0_LRVW8_LWPMn1_MIAV0_MKFGSU256_NTA0_NTB0_NTC3_NTD3_NEPBS0_NLCA1_NLCB1_ONLL1_PGR2_PLR5_PKA0_SIA3_SLW1_SS1_SU0_SUM0_SUS0_SPO1_SRVW0_SSO0_SVW8_TSGRA0_TSGRB0_TT8_128_TLDS0_UMLDSA0_UMLDSB0_USFGROn1_VAW1_VSn1_VW8_VWB8_VFLRP1_WSGRA1_WSGRB1_WG32_8_1_WGM16.kd'
    .language:                   OpenCL C
    .language_version:
      - 2
      - 0
    .args:
      - .name:            Tensor2dSizeA
        .size:            8
        .offset:          0
        .value_kind:      by_value
        .value_type:      u64
      - .name:            Tensor2dSizeB
        .size:            8
        .offset:          8
        .value_kind:      by_value
        .value_type:      u64
      - .name:            AddressD
        .size:            8
        .offset:          16
        .value_kind:      by_value
        .value_type:      u64
      - .name:            AddressC
        .size:            8
        .offset:          24
        .value_kind:      by_value
        .value_type:      u64
      - .name:            AddressA
        .size:            8
        .offset:          32
        .value_kind:      by_value
        .value_type:      u64
      - .name:            AddressB
        .size:            8
        .offset:          40
        .value_kind:      by_value
        .value_type:      u64
      - .name:            Alpha
        .size:            4
        .offset:          48
        .value_kind:      by_value
        .value_type:      u32
      - .name:            Beta
        .size:            4
        .offset:          52
        .value_kind:      by_value
        .value_type:      u32
      - .name:            StridesD
        .size:            8
        .offset:          56
        .value_kind:      by_value
        .value_type:      u64
      - .name:            StridesC
        .size:            8
        .offset:          64
        .value_kind:      by_value
        .value_type:      u64
      - .name:            StridesA
        .size:            8
        .offset:          72
        .value_kind:      by_value
        .value_type:      u64
      - .name:            StridesB
        .size:            8
        .offset:          80
        .value_kind:      by_value
        .value_type:      u64
      - .name:            SizesFree
        .size:            12
        .offset:          88
        .value_kind:      by_value
        .value_type:      u96
      - .name:            SizesSum
        .size:            4
        .offset:          100
        .value_kind:      by_value
        .value_type:      u32
      - .name:            NumWorkGroups0
        .size:            4
        .offset:          104
        .value_kind:      by_value
        .value_type:      u32
      - .name:            NumWorkGroups1
        .size:            4
        .offset:          108
        .value_kind:      by_value
        .value_type:      u32
      - .name:            NumFullBlocks
        .size:            4
        .offset:          112
        .value_kind:      by_value
        .value_type:      u32
      - .name:            WgmRemainder1
        .size:            4
        .offset:          116
        .value_kind:      by_value
        .value_type:      u32
      - .name:            MagicNumberWgmRemainder1
        .size:            4
        .offset:          120
        .value_kind:      by_value
        .value_type:      u32
    .group_segment_fixed_size:   65536
    .kernarg_segment_align:      8
    .kernarg_segment_size:       128
    .max_flat_workgroup_size:    256
    .private_segment_fixed_size: 0
    .sgpr_count:                 76
    .sgpr_spill_count:           0
    .vgpr_count:                 256
    .vgpr_spill_count:           0
    .wavefront_size:             64
...
.end_amdgpu_metadata
Cijk_Ailk_Bjlk_F8B8B8S_BH_MT256x256x128_MI16x16x32x1_SN_1LDSB1_APM1_AF0EM16_AF1EM16_AMAS3_ASE_ASGT3512_ASLT_ASM_ASAE01_ASCE01_ASEM1_BL1_BS1_CLR1_DTVA0_DTVB0_ETSP_EPS1_ELFLR4_EMLL0_FSSC10_FL0_GLVWA16_GLVWB16_GRCGA1_GRPM1_GRVW16_GSU1_GSUASB_GLS0_IU1_K1_LBSPPA0_LBSPPB0_LPA0_LPB0_LRVW8_LWPMn1_MIAV0_MKFGSU256_NTA0_NTB0_NTC3_NTD3_NEPBS0_NLCA1_NLCB1_ONLL1_PGR2_PLR5_PKA0_SIA3_SLW1_SS1_SU0_SUM0_SUS0_SPO1_SRVW0_SSO0_SVW8_TSGRA0_TSGRB0_TT8_128_TLDS0_UMLDSA0_UMLDSB0_USFGROn1_VAW1_VSn1_VW8_VWB8_VFLRP1_WSGRA1_WSGRB1_WG32_8_1_WGM16:

/******************************************/
/* Asm syntax workarounds                 */
/******************************************/
.macro _v_add_co_u32 dst:req, cc:req, src0:req, src1:req, dpp=
   v_add_co_u32 \dst, \cc, \src0, \src1 \dpp
.endm

.macro _v_add_u32 dst:req, src0:req, src1:req, dpp=
   v_add_u32 \dst, \src0, \src1 \dpp
.endm

.macro _v_add_i32 dst:req, src0:req, src1:req, dpp=
   v_add_i32 \dst, \src0, \src1 \dpp
.endm

.macro _v_addc_co_u32 dst:req, ccOut:req, src0:req, ccIn:req, src1:req, dpp=
   v_addc_co_u32 \dst, \ccOut, \src0, \ccIn, \src1 \dpp
.endm

.macro _v_sub_co_u32 dst:req, cc:req, src0:req, src1:req, dpp=
   v_sub_co_u32 \dst, \cc, \src0, \src1 \dpp
.endm

.macro _v_sub_u32 dst:req, src0:req, src1:req, dpp=
   v_sub_u32 \dst, \src0, \src1 \dpp
.endm

.macro _v_sub_i32 dst:req, src0:req, src1:req, dpp=
   v_sub_i32 \dst, \src0, \src1 \dpp
.endm

.macro _v_add_lshl_u32 dst:req, src0:req, src1:req, shiftCnt:req
    v_add_lshl_u32 \dst, \src0, \src1, \shiftCnt
.endm

.macro _v_lshl_add_u32 dst:req, src0:req, src1:req, shiftCnt:req
    v_lshl_add_u32 \dst, \src0, \src1, \shiftCnt
.endm

.macro _v_lshl_or_b32 dst:req, src0:req, shiftCnt:req, src1:req
    v_lshl_or_b32 \dst, \src0, \shiftCnt, \src1
.endm

.macro _v_dot2acc_f32_f16 dst, src0, src1
v_dot2c_f32_f16 \dst, \src0, \src1
.endm

.macro _v_cmpx_lt_i16 dst, src0, src1=
   v_cmpx_lt_i16 \dst, \src0, \src1 
.endm

.macro _v_cmpx_lt_i32 dst, src0, src1=
   v_cmpx_lt_i32 \dst, \src0, \src1 
.endm

.macro _v_cmpx_lt_i64 dst, src0, src1=
   v_cmpx_lt_i64 \dst, \src0, \src1 
.endm

.macro _v_cmpx_lt_u16 dst, src0, src1=
   v_cmpx_lt_u16 \dst, \src0, \src1 
.endm

.macro _v_cmpx_lt_u32 dst, src0, src1=
   v_cmpx_lt_u32 \dst, \src0, \src1 
.endm

.macro _v_cmpx_lt_u64 dst, src0, src1=
   v_cmpx_lt_u64 \dst, \src0, \src1 
.endm

.macro _v_cmpx_eq_i16 dst, src0, src1=
   v_cmpx_eq_i16 \dst, \src0, \src1 
.endm

.macro _v_cmpx_eq_i32 dst, src0, src1=
   v_cmpx_eq_i32 \dst, \src0, \src1 
.endm

.macro _v_cmpx_eq_i64 dst, src0, src1=
   v_cmpx_eq_i64 \dst, \src0, \src1 
.endm

.macro _v_cmpx_eq_u16 dst, src0, src1=
   v_cmpx_eq_u16 \dst, \src0, \src1 
.endm

.macro _v_cmpx_eq_u32 dst, src0, src1=
   v_cmpx_eq_u32 \dst, \src0, \src1 
.endm

.macro _v_cmpx_eq_u64 dst, src0, src1=
   v_cmpx_eq_u64 \dst, \src0, \src1 
.endm

.macro _v_cmpx_le_i16 dst, src0, src1=
   v_cmpx_le_i16 \dst, \src0, \src1 
.endm

.macro _v_cmpx_le_i32 dst, src0, src1=
   v_cmpx_le_i32 \dst, \src0, \src1 
.endm

.macro _v_cmpx_le_i64 dst, src0, src1=
   v_cmpx_le_i64 \dst, \src0, \src1 
.endm

.macro _v_cmpx_le_u16 dst, src0, src1=
   v_cmpx_le_u16 \dst, \src0, \src1 
.endm

.macro _v_cmpx_le_u32 dst, src0, src1=
   v_cmpx_le_u32 \dst, \src0, \src1 
.endm

.macro _v_cmpx_le_u64 dst, src0, src1=
   v_cmpx_le_u64 \dst, \src0, \src1 
.endm

.macro _v_cmpx_gt_i16 dst, src0, src1=
   v_cmpx_gt_i16 \dst, \src0, \src1 
.endm

.macro _v_cmpx_gt_i32 dst, src0, src1=
   v_cmpx_gt_i32 \dst, \src0, \src1 
.endm

.macro _v_cmpx_gt_i64 dst, src0, src1=
   v_cmpx_gt_i64 \dst, \src0, \src1 
.endm

.macro _v_cmpx_gt_u16 dst, src0, src1=
   v_cmpx_gt_u16 \dst, \src0, \src1 
.endm

.macro _v_cmpx_gt_u32 dst, src0, src1=
   v_cmpx_gt_u32 \dst, \src0, \src1 
.endm

.macro _v_cmpx_gt_u64 dst, src0, src1=
   v_cmpx_gt_u64 \dst, \src0, \src1 
.endm

.macro _v_cmpx_ne_i16 dst, src0, src1=
   v_cmpx_ne_i16 \dst, \src0, \src1 
.endm

.macro _v_cmpx_ne_i32 dst, src0, src1=
   v_cmpx_ne_i32 \dst, \src0, \src1 
.endm

.macro _v_cmpx_ne_i64 dst, src0, src1=
   v_cmpx_ne_i64 \dst, \src0, \src1 
.endm

.macro _v_cmpx_ne_u16 dst, src0, src1=
   v_cmpx_ne_u16 \dst, \src0, \src1 
.endm

.macro _v_cmpx_ne_u32 dst, src0, src1=
   v_cmpx_ne_u32 \dst, \src0, \src1 
.endm

.macro _v_cmpx_ne_u64 dst, src0, src1=
   v_cmpx_ne_u64 \dst, \src0, \src1 
.endm

.macro _v_cmpx_lg_i16 dst, src0, src1=
   v_cmpx_lg_i16 \dst, \src0, \src1 
.endm

.macro _v_cmpx_lg_i32 dst, src0, src1=
   v_cmpx_lg_i32 \dst, \src0, \src1 
.endm

.macro _v_cmpx_lg_i64 dst, src0, src1=
   v_cmpx_lg_i64 \dst, \src0, \src1 
.endm

.macro _v_cmpx_lg_u16 dst, src0, src1=
   v_cmpx_lg_u16 \dst, \src0, \src1 
.endm

.macro _v_cmpx_lg_u32 dst, src0, src1=
   v_cmpx_lg_u32 \dst, \src0, \src1 
.endm

.macro _v_cmpx_lg_u64 dst, src0, src1=
   v_cmpx_lg_u64 \dst, \src0, \src1 
.endm

.macro _v_cmpx_ge_i16 dst, src0, src1=
   v_cmpx_ge_i16 \dst, \src0, \src1 
.endm

.macro _v_cmpx_ge_i32 dst, src0, src1=
   v_cmpx_ge_i32 \dst, \src0, \src1 
.endm

.macro _v_cmpx_ge_i64 dst, src0, src1=
   v_cmpx_ge_i64 \dst, \src0, \src1 
.endm

.macro _v_cmpx_ge_u16 dst, src0, src1=
   v_cmpx_ge_u16 \dst, \src0, \src1 
.endm

.macro _v_cmpx_ge_u32 dst, src0, src1=
   v_cmpx_ge_u32 \dst, \src0, \src1 
.endm

.macro _v_cmpx_ge_u64 dst, src0, src1=
   v_cmpx_ge_u64 \dst, \src0, \src1 
.endm

.macro _v_cmpx_o_i16 dst, src0, src1=
   v_cmpx_o_i16 \dst, \src0, \src1 
.endm

.macro _v_cmpx_o_i32 dst, src0, src1=
   v_cmpx_o_i32 \dst, \src0, \src1 
.endm

.macro _v_cmpx_o_i64 dst, src0, src1=
   v_cmpx_o_i64 \dst, \src0, \src1 
.endm

.macro _v_cmpx_o_u16 dst, src0, src1=
   v_cmpx_o_u16 \dst, \src0, \src1 
.endm

.macro _v_cmpx_o_u32 dst, src0, src1=
   v_cmpx_o_u32 \dst, \src0, \src1 
.endm

.macro _v_cmpx_o_u64 dst, src0, src1=
   v_cmpx_o_u64 \dst, \src0, \src1 
.endm

.macro _v_cmpx_u_i16 dst, src0, src1=
   v_cmpx_u_i16 \dst, \src0, \src1 
.endm

.macro _v_cmpx_u_i32 dst, src0, src1=
   v_cmpx_u_i32 \dst, \src0, \src1 
.endm

.macro _v_cmpx_u_i64 dst, src0, src1=
   v_cmpx_u_i64 \dst, \src0, \src1 
.endm

.macro _v_cmpx_u_u16 dst, src0, src1=
   v_cmpx_u_u16 \dst, \src0, \src1 
.endm

.macro _v_cmpx_u_u32 dst, src0, src1=
   v_cmpx_u_u32 \dst, \src0, \src1 
.endm

.macro _v_cmpx_u_u64 dst, src0, src1=
   v_cmpx_u_u64 \dst, \src0, \src1 
.endm
.macro _v_mac_f32 c:req, a:req, b:req
    v_fmac_f32 \c, \a, \b
.endmacro

/* scale global load macros */
.macro _s_load_b32 dst base offset
    s_load_dword \dst \base \offset
.endm

.macro _s_load_b64 dst base offset
    s_load_dwordx2 \dst \base \offset
.endm

.macro _s_load_b128 dst base offset
    s_load_dwordx4 \dst \base \offset
.endm

.macro _s_load_b256 dst base offset
    s_load_dwordx8 \dst \base \offset
.endm

.macro _s_load_b512 dst base offset
    s_load_dwordx16 \dst \base \offset
.endm


/* ds operation macros */
.macro _ds_load_u8 dst src offset
    ds_read_u8 \dst \src \offset
.endm

.macro _ds_load_u8_d16_hi dst src offset
    ds_read_u8_d16_hi \dst \src \offset
.endm

.macro _ds_load_u16 dst src offset
    ds_read_u16 \dst \src \offset
.endm

.macro _ds_load_u16_d16_hi dst src offset
    ds_read_u16_d16_hi \dst \src \offset
.endm

.macro _ds_load_b32 dst src offset
    ds_read_b32 \dst \src \offset
.endm

.macro _ds_load_b64 dst src offset
    ds_read_b64 \dst \src \offset
.endm

.macro _ds_load_b128 dst src offset
    ds_read_b128 \dst \src \offset
.endm

.macro _ds_store_b8 dst src offset
    ds_write_b8 \dst \src \offset
.endm

.macro _ds_store_b8_d16_hi dst src offset
    ds_write_b8_d16_hi \dst \src \offset
.endm

.macro _ds_store_b16 dst src offset
    ds_write_b16 \dst \src \offset
.endm

.macro _ds_store_b16_d16_hi dst src offset
    ds_write_b16_d16_hi \dst \src \offset
.endm

.macro _ds_store_b32 dst src offset
    ds_write_b32 \dst \src \offset
.endm

.macro _ds_store_b64 dst src offset
    ds_write_b64 \dst \src \offset
.endm

.macro _ds_store_b128 dst src offset
    ds_write_b128 \dst \src \offset
.endm

.macro _ds_load2_b32 dst src offset1 offset2
    ds_read2_b32 \dst \src \offset1 \offset2
.endm

.macro _ds_load2_b64 dst src offset1 offset2
    ds_read2_b64 \dst \src \offset1 \offset2
.endm

.macro _ds_store2_b32 dst src offset1 offset2
    ds_write2_b32 \dst \src \offset1 \offset2
.endm

.macro _ds_store2_b64 dst src offset1 offset2
    ds_write2_b64 \dst \src \offset1 \offset2
.endm


/* buffer memory operation macros */
.macro _buffer_load_b32 dst voffset base soffset offen ioffset md0 md1 md2
    buffer_load_dword \dst \voffset \base \soffset \offen \ioffset \md0 \md1 \md2
.endm

.macro _buffer_load_b64 dst voffset base soffset offen ioffset md0 md1 md2
    buffer_load_dwordx2 \dst \voffset \base \soffset \offen \ioffset \md0 \md1 \md2
.endm

.macro _buffer_load_b96 dst voffset base soffset offen ioffset md0 md1 md2
    buffer_load_dwordx3 \dst \voffset \base \soffset \offen \ioffset \md0 \md1 \md2
.endm

.macro _buffer_load_b128 dst voffset base soffset offen ioffset md0 md1 md2
    buffer_load_dwordx4 \dst \voffset \base \soffset \offen \ioffset \md0 \md1 \md2
.endm

.macro _buffer_load_d16_b16 dst voffset base soffset offen ioffset md0 md1 md2
    buffer_load_short_d16 \dst \voffset \base \soffset \offen \ioffset \md0 \md1 \md2
.endm

.macro _buffer_load_d16_hi_b16 dst voffset base soffset offen ioffset md0 md1 md2
    buffer_load_short_d16_hi \dst \voffset \base \soffset \offen \ioffset \md0 \md1 \md2
.endm

.macro _buffer_load_d16_u8 dst voffset base soffset offen ioffset md0 md1 md2
    buffer_load_ubyte_d16 \dst \voffset \base \soffset \offen \ioffset \md0 \md1 \md2
.endm

.macro _buffer_load_d16_hi_u8 dst voffset base soffset offen ioffset md0 md1 md2
    buffer_load_ubyte_d16_hi \dst \voffset \base \soffset \offen \ioffset \md0 \md1 \md2
.endm

.macro _buffer_load_u16 dst voffset base soffset offen ioffset md0 md1 md2
    buffer_load_ushort \dst \voffset \base \soffset \offen \ioffset \md0 \md1 \md2
.endm

.macro _buffer_load_b32_dtl voffset base soffset offen ioffset md0 md1 md2
    buffer_load_dword \voffset \base \soffset \offen \ioffset \md0 \md1 \md2
.endm

.macro _buffer_load_b64_dtl voffset base soffset offen ioffset md0 md1 md2
    buffer_load_dwordx2 \voffset \base \soffset \offen \ioffset \md0 \md1 \md2
.endm

.macro _buffer_load_b128_dtl voffset base soffset offen ioffset md0 md1 md2
    buffer_load_dwordx4 \voffset \base \soffset \offen \ioffset \md0 \md1 \md2
.endm

.macro _buffer_load_u16_dtl voffset base soffset offen ioffset md0 md1 md2
    buffer_load_ushort \voffset \base \soffset \offen \ioffset \md0 \md1 \md2
.endm

.macro _buffer_store_b32 src voffset base soffset offen ioffset md0 md1 md2
    buffer_store_dword \src \voffset \base \soffset \offen \ioffset \md0 \md1 \md2
.endm

.macro _buffer_store_b64 src voffset base soffset offen ioffset md0 md1 md2
    buffer_store_dwordx2 \src \voffset \base \soffset \offen \ioffset \md0 \md1 \md2
.endm

.macro _buffer_store_b96 src voffset base soffset offen ioffset md0 md1 md2
    buffer_store_dwordx3 \src \voffset \base \soffset \offen \ioffset \md0 \md1 \md2
.endm

.macro _buffer_store_b128 src voffset base soffset offen ioffset md0 md1 md2
    buffer_store_dwordx4 \src \voffset \base \soffset \offen \ioffset \md0 \md1 \md2
.endm

.macro _buffer_store_b16 src voffset base soffset offen ioffset md0 md1 md2
    buffer_store_short \src \voffset \base \soffset \offen \ioffset \md0 \md1 \md2
.endm

.macro _buffer_store_d16_hi_b16 src voffset base soffset offen ioffset md0 md1 md2
    buffer_store_short_d16_hi \src \voffset \base \soffset \offen \ioffset \md0 \md1 \md2
.endm

.macro _buffer_store_b8 src voffset base soffset offen ioffset md0 md1 md2
    buffer_store_byte \src \voffset \base \soffset \offen \ioffset \md0 \md1 \md2
.endm

.macro _buffer_store_d16_hi_b8 src voffset base soffset offen ioffset md0 md1 md2
    buffer_store_byte_d16_hi \src \voffset \base \soffset \offen \ioffset \md0 \md1 \md2
.endm

.macro _buffer_atomic_cmpswap_b32 dst voffset base soffset offen ioffset md0 md1 md2
    buffer_atomic_cmpswap \dst \voffset \base \soffset \offen \ioffset \md0 \md1 \md2
.endm

.macro _buffer_atomic_cmpswap_b64 dst voffset base soffset offen ioffset md0 md1 md2
    buffer_atomic_cmpswap_x2 \dst \voffset \base \soffset \offen \ioffset \md0 \md1 \md2
.endm


/* buffer memory operation macros */
.macro _global_load_b32 dst base src ioffset md0 md1 md2
    global_load_dword \dst \base \src \ioffset \md0 \md1 \md2
.endm

.macro _global_load_b64 dst base src ioffset md0 md1 md2
    global_load_dwordx2 \dst \base \src \ioffset \md0 \md1 \md2
.endm

.macro _global_load_b96 dst base src ioffset md0 md1 md2
    global_load_dwordx3 \dst \base \src \ioffset \md0 \md1 \md2
.endm

.macro _global_load_b128 dst base src ioffset md0 md1 md2
    global_load_dwordx4 \dst \base \src \ioffset \md0 \md1 \md2
.endm

.macro _global_load_d16_b16 dst base src ioffset md0 md1 md2
    global_load_short_d16 \dst \base \src \ioffset \md0 \md1 \md2
.endm

.macro _global_load_d16_hi_b16 dst base src ioffset md0 md1 md2
    global_load_short_d16_hi \dst \base \src \ioffset \md0 \md1 \md2
.endm

.macro _global_load_d16_u8 dst base src ioffset md0 md1 md2
    global_load_ubyte_d16 \dst \base \src \ioffset \md0 \md1 \md2
.endm

.macro _global_load_d16_hi_u8 dst base src ioffset md0 md1 md2
    global_load_ubyte_d16_hi \dst \base \src \ioffset \md0 \md1 \md2
.endm

.macro _global_load_u16 dst base src ioffset md0 md1 md2
    global_load_ushort \dst \base \src \ioffset \md0 \md1 \md2
.endm

.macro _global_store_b32 base src src2 md0 md1 md2
    global_store_dword \base \src \src2 \md0 \md1 \md2
.endm

.macro _global_store_b64 base src src2 md0 md1 md2
    global_store_dwordx2 \base \src \src2 \md0 \md1 \md2
.endm

.macro _global_store_b96 base src src2 md0 md1 md2
    global_store_dwordx3 \base \src \src2 \md0 \md1 \md2
.endm

.macro _global_store_b128 base src src2 md0 md1 md2
    global_store_dwordx4 \base \src \src2 \md0 \md1 \md2
.endm

.macro _global_store_d16_b16 base src src2 md0 md1 md2
    global_store_short \base \src \src2 \md0 \md1 \md2
.endm

.macro _global_store_d16_hi_b16 base src src2 md0 md1 md2
    global_store_short_d16_hi \base \src \src2 \md0 \md1 \md2
.endm

.macro _global_store_d16_u8 base src src2 md0 md1 md2
    global_store_ubyte_d16 \base \src \src2 \md0 \md1 \md2
.endm

.macro _global_store_d16_hi_u8 base src src2 md0 md1 md2
    global_store_ubyte_d16_hi \base \src \src2 \md0 \md1 \md2
.endm

.macro _global_store_u16 base src src2 md0 md1 md2
    global_store_ushort \base \src \src2 \md0 \md1 \md2
.endm

.macro _global_atomic_cmpswap_b32 tmp base data src ioffset md
    global_atomic_cmpswap \tmp \base \data \src \ioffset \md
.endm

.macro _global_atomic_cmpswap_b64 tmp base data src ioffset md
    global_atomic_cmpswap_x2 \tmp \base \data \src \ioffset \md
.endm


/******************************************/
/* Magic div and mod functions            */
/******************************************/
.macro V_MAGIC_DIV dstIdx:req, dividend:req, magicNumber:req, magicShift:req, magicA:req
    v_mul_hi_u32 v[\dstIdx+1], \dividend, \magicNumber
    v_mul_lo_u32 v[\dstIdx+0], \dividend, \magicA
    _v_add_u32 v[\dstIdx+0], v[\dstIdx+0], v[\dstIdx+1]
    v_lshrrev_b32 v[\dstIdx+0], \magicShift, v[\dstIdx+0]
.endm

/******************************************/
/* VGPR Assignments                       */
/******************************************/
/* ValuC range: [0-0), serializedStore enabled */
.set vgprValuC, 0
/* ValuA/B   Xn=PLR buffer idx,  In=InnerUnroll idx */
.set vgprValuA_X0_I0, 0
.set vgprValuA_X1_I0, 0
.set vgprValuA_X2_I0, 0
.set vgprValuA_X3_I0, 0
.set vgprValuA_X0_I0_D0, 16
.set vgprValuA_X0_I0_D1, 18
.set vgprValuA_X0_I0_D2, 20
.set vgprValuA_X0_I0_D3, 22
.set vgprValuA_X0_I0_D4, 24
.set vgprValuA_X0_I0_D5, 26
.set vgprValuA_X0_I0_D6, 28
.set vgprValuA_X0_I0_D7, 30
.set vgprValuA_X1_I0_D0, 32
.set vgprValuA_X1_I0_D1, 34
.set vgprValuA_X1_I0_D2, 36
.set vgprValuA_X1_I0_D3, 38
.set vgprValuA_X1_I0_D4, 40
.set vgprValuA_X1_I0_D5, 42
.set vgprValuA_X1_I0_D6, 44
.set vgprValuA_X1_I0_D7, 46
.set vgprValuA_X2_I0_D0, 48
.set vgprValuA_X2_I0_D1, 50
.set vgprValuA_X2_I0_D2, 52
.set vgprValuA_X2_I0_D3, 54
.set vgprValuA_X2_I0_D4, 56
.set vgprValuA_X2_I0_D5, 58
.set vgprValuA_X2_I0_D6, 60
.set vgprValuA_X2_I0_D7, 62
.set vgprValuA_X3_I0_D0, 64
.set vgprValuA_X3_I0_D1, 66
.set vgprValuA_X3_I0_D2, 68
.set vgprValuA_X3_I0_D3, 70
.set vgprValuA_X3_I0_D4, 72
.set vgprValuA_X3_I0_D5, 74
.set vgprValuA_X3_I0_D6, 76
.set vgprValuA_X3_I0_D7, 78
.set vgprG2LA, 164
.set vgprValuB_X0_I0, 80
.set vgprValuB_X1_I0, 80
.set vgprValuB_X2_I0, 80
.set vgprValuB_X3_I0, 80
.set vgprValuB_X0_I0_D0, 96
.set vgprValuB_X0_I0_D1, 98
.set vgprValuB_X0_I0_D2, 100
.set vgprValuB_X0_I0_D3, 102
.set vgprValuB_X0_I0_D4, 104
.set vgprValuB_X0_I0_D5, 106
.set vgprValuB_X0_I0_D6, 108
.set vgprValuB_X0_I0_D7, 110
.set vgprValuB_X1_I0_D0, 112
.set vgprValuB_X1_I0_D1, 114
.set vgprValuB_X1_I0_D2, 116
.set vgprValuB_X1_I0_D3, 118
.set vgprValuB_X1_I0_D4, 120
.set vgprValuB_X1_I0_D5, 122
.set vgprValuB_X1_I0_D6, 124
.set vgprValuB_X1_I0_D7, 126
.set vgprValuB_X2_I0_D0, 128
.set vgprValuB_X2_I0_D1, 130
.set vgprValuB_X2_I0_D2, 132
.set vgprValuB_X2_I0_D3, 134
.set vgprValuB_X2_I0_D4, 136
.set vgprValuB_X2_I0_D5, 138
.set vgprValuB_X2_I0_D6, 140
.set vgprValuB_X2_I0_D7, 142
.set vgprValuB_X3_I0_D0, 144
.set vgprValuB_X3_I0_D1, 146
.set vgprValuB_X3_I0_D2, 148
.set vgprValuB_X3_I0_D3, 150
.set vgprValuB_X3_I0_D4, 152
.set vgprValuB_X3_I0_D5, 154
.set vgprValuB_X3_I0_D6, 156
.set vgprValuB_X3_I0_D7, 158
.set vgprG2LB, 196
.set vgprLocalWriteAddrA, 160
.set vgprLocalWriteAddrB, 161
.set vgprGlobalReadOffsetA, 162
.set vgprGlobalReadOffsetB, 163
.set vgprLocalReadAddrA, 228
.set vgprLocalReadAddrB, 229
.set vgprPackTemp, 230
.set vgprSerial, 231
/* Num VGPR=256 */
/* Num AccVGPR=256 */

/******************************************/
/* SGPR Assignments                       */
/******************************************/
.set sgprKernArgAddress, 0 // (2)
.set sgprWorkGroup0, 2 // (1)
.set sgprWorkGroup1, 3 // (1)
.set sgprWorkGroup2, 4 // (1)
.set sgprLoopCounterL, 5 // (1)
.set sgprOrigLoopCounter, 6 // (1)
.set sgprSrdA, 8 // (4)
.set sgprSrdB, 12 // (4)
.set sgprSrdD, 16 // (4)
.set sgprSrdC, 20 // (4)
.set sgprTensor2dSizeA, 24 // (2)
.set sgprTensor2dSizeB, 26 // (2)
.set sgprAddressD, 28 // (2)
.set sgprAddressC, 30 // (2)
.set sgprAddressA, 32 // (2)
.set sgprAddressB, 34 // (2)
.set sgprAlpha, 36 // (1)
.set sgprBeta, 37 // (1)
.set sgprStridesD, 38 // (2)
.set sgprStridesC, 40 // (2)
.set sgprStridesA, 42 // (2)
.set sgprStridesB, 44 // (2)
.set sgprSizesFree, 46 // (3)
.set sgprSizesSum, 49 // (1)
.set sgprNumWorkGroups0, 50 // (1)
.set sgprNumWorkGroups1, 51 // (1)
.set sgprNumFullBlocks, 52 // (1)
.set sgprWgmRemainder1, 53 // (1)
.set sgprMagicNumberWgmRemainder1, 54 // (1)
.set sgprShadowLimitA, 0 // (2)
.set sgprShadowLimitB, 28 // (2)
.set sgprGlobalReadIncsA, 7 // (1)
.set sgprGlobalReadIncsB, 30 // (1)
.set sgprPackKForV0, 31 // (1)
.set sgprPackKForV1, 32 // (1)
.set sgprPackKForV2, 33 // (1)
.set sgprPackKForV3, 34 // (1)
.set sgprScalarGlobalReadOffsetA, 58 // (7)
.set sgprScalarGlobalReadOffsetB, 65 // (7)
/* max SGPR=76 */

/* Size Assignments */
.set sgprSizeI, sgprSizesFree+0
.set sgprSizeJ, sgprSizesFree+1
.set sgprSizeK, sgprSizesFree+2
.set sgprSizeL, sgprSizesSum+0

/* Stride Assignments */
.set constStrideD0I, 1
.set sgprStrideD1J, sgprStridesD+0
.set sgprStrideDK, sgprStridesD+1
.set constStrideC0I, 1
.set sgprStrideC1J, sgprStridesC+0
.set sgprStrideCK, sgprStridesC+1
.set constStrideA0I, 1
.set sgprStrideAL, sgprStridesA+0
.set sgprStrideAK, sgprStridesA+1
.set constStrideB1J, 1
.set sgprStrideBL, sgprStridesB+0
.set sgprStrideBK, sgprStridesB+1

.set MT0, 256
.set MT1, 256
.set DepthU, 128
.set GSU, 1
.set BpeA, 1
.set BpeALog2, 0
.set BpeB, 1
.set BpeBLog2, 0
/* Number of elements to shift-left SRD */
.set SrdShiftLeftA, 16
.set SrdShiftLeftB, 16
/* 2GB limit - set offsets to -1 to exceed this and clamp */
.set BufferLimitA, 0xffffffff
.set BufferLimitB, 0xffffffff
.set BufferOOB, 0xfffff000

/******************************************/
/* Bits 127:96 of SRD.                    */
/* hex: 0x00020000                        */
/* dst_sel_x (3b): 0                      */
/* dst_sel_y (3b): 0                      */
/* dst_sel_z (3b): 0                      */
/* dst_sel_w (3b): 0                      */
/* num_format (3b): 0                     */
/* data_format (4b): 4                    */
/* user_vm_enable (1b): 0                 */
/* user_vm_mode (1b): 0                   */
/* index_stride (2b): 0                   */
/* add_tid_enable (1b): 0                 */
/* _unusedA (3b): 0                       */
/* nv (1b): 0                             */
/* _unusedB (2b): 0                       */
/* type (2b): 0                           */
/******************************************/
.set Srd127_96, 0x00020000

/* Global Offset A */
.macro GLOBAL_OFFSET_A vgprAddr:req vgprOffset0I:req vgprOffsetL:req vgprTmp:req
v_mul_lo_u32 v[\vgprTmp+0], s[sgprStrideAL], v[\vgprOffsetL] // mul d1 lower
_v_add_co_u32 v[\vgprAddr+0], vcc, v[\vgprOffset0I], v[\vgprTmp+0] // accumulate K lower
_v_add_u32 v[\vgprAddr+0], 0x10, v[\vgprAddr+0]    // add prepad for pointer shift
                                                   // offset *= bytes/element (multiplier is 1, do nothing)
.endm

/* Global Offset B */
.macro GLOBAL_OFFSET_B vgprAddr:req vgprOffset1J:req vgprOffsetL:req vgprTmp:req
v_mul_lo_u32 v[\vgprTmp+0], s[sgprStrideBL], v[\vgprOffsetL] // mul d1 lower
_v_add_co_u32 v[\vgprAddr+0], vcc, v[\vgprOffset1J], v[\vgprTmp+0] // accumulate K lower
_v_add_u32 v[\vgprAddr+0], 0x10, v[\vgprAddr+0]    // add prepad for pointer shift
                                                   // offset *= bytes/element (multiplier is 1, do nothing)
.endm

/******************************************/
/* Dynamic Scalar Divide: vQuotient=vDividend/vDivisor; vRemainder=vDividend%vDivisor; */
/******************************************/
.macro DYNAMIC_VECTOR_DIVIDE vQuotient vRemainder vDividend vDivisor vTmp0 vTmp1 sTmp
v_cvt_f32_u32 v[\vQuotient], v[\vDivisor]          // 
v_rcp_f32 v[\vQuotient], v[\vQuotient]             // 
v_mul_f32 v[\vQuotient], 0x4f800000, v[\vQuotient] // 
v_cvt_u32_f32 v[\vQuotient], v[\vQuotient]         // 
v_mul_lo_u32 v[\vRemainder], v[\vDivisor], v[\vQuotient] // 
v_mul_hi_u32 v[\vTmp0], v[\vDivisor], v[\vQuotient] // 
_v_sub_co_u32 v[\vTmp1], vcc, 0x0, v[\vRemainder]  // 
v_cmp_ne_i32 s[\sTmp:\sTmp+1], 0x0, v[\vTmp0]      // 
v_cndmask_b32 v[\vRemainder], v[\vTmp1], v[\vRemainder], s[\sTmp:\sTmp+1] // 
v_mul_hi_u32 v[\vRemainder], v[\vRemainder], v[\vQuotient] // 
_v_sub_co_u32 v[\vTmp0], vcc, v[\vQuotient], v[\vRemainder] // 
_v_add_co_u32 v[\vQuotient], vcc, v[\vQuotient], v[\vRemainder] // 
v_cndmask_b32 v[\vQuotient], v[\vQuotient], v[\vTmp0], s[\sTmp:\sTmp+1] // 
v_mul_hi_u32 v[\vQuotient], v[\vQuotient], v[\vDividend] // 
v_mul_lo_u32 v[\vRemainder], v[\vQuotient], v[\vDivisor] // 
_v_sub_co_u32 v[\vTmp0], vcc, v[\vDividend], v[\vRemainder] // 
v_cmp_ge_u32 s[\sTmp:\sTmp+1], v[\vDividend], v[\vRemainder] // 
_v_add_co_u32 v[\vRemainder], vcc, 0x1, v[\vQuotient] // 
_v_add_co_u32 v[\vTmp1], vcc, -1, v[\vQuotient]    // 
v_cmp_le_u32 vcc, v[\vDivisor], v[\vTmp0]          // 
s_and_b64 vcc, s[\sTmp:\sTmp+1], vcc               // 
v_cndmask_b32 v[\vQuotient], v[\vQuotient], v[\vRemainder], vcc // 
v_cndmask_b32 v[\vQuotient], v[\vTmp1], v[\vQuotient], s[\sTmp:\sTmp+1] // 
v_cmp_ne_i32 vcc, 0x0, v[\vDivisor]                // 
v_cndmask_b32 v[\vQuotient], -1, v[\vQuotient], vcc // final result
v_mul_lo_u32 v[\vRemainder], v[\vQuotient], v[\vDivisor] // 
_v_sub_co_u32 v[\vRemainder], vcc, v[\vDividend], v[\vRemainder] // final result
.endm


	;; [unrolled: 1-line block ×3, first 2 shown]
/******************************************/
/* Allocate Resources                     */
/******************************************/

Cijk_Ailk_Bjlk_F8B8B8S_BH_MT256x256x128_MI16x16x32x1_SN_1LDSB1_APM1_AF0EM16_AF1EM16_AMAS3_ASE_ASGT3512_ASLT_ASM_ASAE01_ASCE01_ASEM1_BL1_BS1_CLR1_DTVA0_DTVB0_ETSP_EPS1_ELFLR4_EMLL0_FSSC10_FL0_GLVWA16_GLVWB16_GRCGA1_GRPM1_GRVW16_GSU1_GSUASB_GLS0_IU1_K1_LBSPPA0_LBSPPB0_LPA0_LPB0_LRVW8_LWPMn1_MIAV0_MKFGSU256_NTA0_NTB0_NTC3_NTD3_NEPBS0_NLCA1_NLCB1_ONLL1_PGR2_PLR5_PKA0_SIA3_SLW1_SS1_SU0_SUM0_SUS0_SPO1_SRVW0_SSO0_SVW8_TSGRA0_TSGRB0_TT8_128_TLDS0_UMLDSA0_UMLDSB0_USFGROn1_VAW1_VSn1_VW8_VWB8_VFLRP1_WSGRA1_WSGRB1_WG32_8_1_WGM16_preloaded: // Kernel start when preloading
s_setprio 3                                        // optimization store

/* Load Kernel Args */
_s_load_b512 s[24:39], s[sgprKernArgAddress:sgprKernArgAddress+1], 0x0 // 
_s_load_b256 s[40:47], s[sgprKernArgAddress:sgprKernArgAddress+1], 0x40 // 
_s_load_b128 s[48:51], s[sgprKernArgAddress:sgprKernArgAddress+1], 0x60 // 
_s_load_b64 s[52:53], s[sgprKernArgAddress:sgprKernArgAddress+1], 0x70 // 
_s_load_b32 s54, s[sgprKernArgAddress:sgprKernArgAddress+1], 0x78 // 
s_mov_b32 m0, 0x10000                              // LDS clamp at 65536 bytes
v_mov_b32 v[vgprSerial], v0                        // thread serial id

/******************************************/
/* Local Read Addresses                   */
/******************************************/


/* local read addresses: tile assignments a/b */

/*lr0I*/
v_and_b32 v1, 63, v[vgprSerial]                    // 0. thread id in wave: wtid = tid % wavelength(64)
v_and_b32 v0, 15, v1                               // 1. N offset: nIdx = wtid % MI_N(16)
                                                   // 1. N offset: nOffset = nIdx * nStride(1) (multiplier is 1, do nothing)
                                                   // 2. block offset: bnIdx = bnIdx % num1DBlocks(1) is 0. do nothing
v_lshlrev_b32 v0, 0x3, v0                          // 4. apply VectorWidth: bnOffset = bnOffset * vw(8)
v_lshrrev_b32 v1, 4, v1                            // 5. K offset: kIdx = wtid / (MIN(16) * MIBB(1))
v_lshlrev_b32 v1, 0xb, v1                          // 5. K offset: lrKOffset = kIdx * mStride(2048)
_v_add_u32 v0, v1, v0                              // 6. offset in wave: lrOffset = bnOffset + lrKOffset
v_lshrrev_b32 v2, 6, v[vgprSerial]                 // 7. wave offset in N dimen: wtid = tid / dividedForWaveId(64)
v_and_b32 v1, 1, v2                                // 7. wave offset in M dimen: wtid0 = wtid / num1DWaves(2)
v_lshlrev_b32 v1, 0x7, v1                          // 7. wave offset in M dimen: wOffset = wtid0 * W0Stride(128)
_v_add_u32 v0, v1, v0                              // 8. final local read offset: flrOffset = lrOffset + WOffset
/*lr1J*/
v_and_b32 v2, 63, v[vgprSerial]                    // 0. thread id in wave: wtid = tid % wavelength(64)
v_and_b32 v1, 15, v2                               // 1. N offset: nIdx = wtid % MI_N(16)
                                                   // 1. N offset: nOffset = nIdx * nStride(1) (multiplier is 1, do nothing)
                                                   // 2. block offset: bnIdx = bnIdx % num1DBlocks(1) is 0. do nothing
v_lshlrev_b32 v1, 0x3, v1                          // 4. apply VectorWidth: bnOffset = bnOffset * vw(8)
v_lshrrev_b32 v2, 4, v2                            // 5. K offset: kIdx = wtid / (MIN(16) * MIBB(1))
v_lshlrev_b32 v2, 0xb, v2                          // 5. K offset: lrKOffset = kIdx * mStride(2048)
_v_add_u32 v1, v2, v1                              // 6. offset in wave: lrOffset = bnOffset + lrKOffset
v_lshrrev_b32 v3, 7, v[vgprSerial]                 // 7. wave offset in N dimen: wtid = tid / dividedForWaveId(128)
v_and_b32 v2, 1, v3                                // 7. wave offset in M dimen: wtid0 = wtid / num1DWaves(2)
v_lshlrev_b32 v2, 0x7, v2                          // 7. wave offset in M dimen: wOffset = wtid0 * W0Stride(128)
_v_add_u32 v1, v2, v1                              // 8. final local read offset: flrOffset = lrOffset + WOffset


/* local read addresses: final offsets a */

v_lshlrev_b32 v[vgprLocalReadAddrA], 0x0, v0       // Final Offset: offset = (lro0)*bpe


/* local read addresses: final offsets b */

v_lshlrev_b32 v[vgprLocalReadAddrB], 0x0, v1       // Final Offset: offset = (lro1)*bpe


/* local read addresses: declare addresses a */

/* N/A */


/* local read addresses: declare addresses b */

_v_add_co_u32 v[vgprLocalReadAddrB+0], vcc, 0x8000, v[vgprLocalReadAddrB+0] //  += LdsOffsetB (lower)


/* global read addresses: tile offset assignment a */

/* LVCA = 16 */
/* v0 = (local)groA-tile = serial%LVCA (note (wgA*MTA) will be added to SRD) */
/* v1 = groA-unroll = serial/LVCA */
v_and_b32 v2, 63, v[vgprSerial]                    // v2 = v[vgprSerial] % 64
v_lshrrev_b32 v1, 4, v2                            // v1 = v2 / 16
v_and_b32 v0, 15, v2                               // v0 = v2 % 16
v_readfirstlane_b32 s56, v[vgprSerial]             // WaveIdxWavefrontWidth
s_lshr_b32 s56, s56, 0x6                           // WaveId
s_mul_i32 s56, s56, 32                             // Global Read Wave: each wave loads continuous lsp(4)*nrp(8) columns
_v_add_u32 v1, s56, v1                             // Global Read Wave: add back to column index
/* gro-tile *= glvw */
v_lshlrev_b32 v0, 0x4, v0                          // v0 = v0 * 16


/* global read addresses: tile offset assignment b */

/* LVCB = 16 */
/* v2 = (local)groB-tile = serial%LVCB (note (wgB*MTB) will be added to SRD) */
/* v3 = groB-unroll = serial/LVCB */
v_and_b32 v4, 63, v[vgprSerial]                    // v4 = v[vgprSerial] % 64
v_lshrrev_b32 v3, 4, v4                            // v3 = v4 / 16
v_and_b32 v2, 15, v4                               // v2 = v4 % 16
v_readfirstlane_b32 s56, v[vgprSerial]             // WaveIdxWavefrontWidth
s_lshr_b32 s56, s56, 0x6                           // WaveId
s_mul_i32 s56, s56, 32                             // Global Read Wave: each wave loads continuous lsp(4)*nrp(8) columns
_v_add_u32 v3, s56, v3                             // Global Read Wave: add back to column index
/* gro-tile *= glvw */
v_lshlrev_b32 v2, 0x4, v2                          // v2 = v2 * 16


/******************************************/
/* Local Write Addresses                  */
/******************************************/

/* lwaTileAssignmentA = v0 */

/* lwaTileAssignmentB = v2 */

/* lwaUnrollAssignmentA = v1 */

/* lwaUnrollAssignmentB = v3 */


/* local write addresses: first offset a */

v_mul_u32_u24 v[vgprLocalWriteAddrA], 0x100, v1    // lwAL**(MTA + PAD)
_v_add_lshl_u32 v[vgprLocalWriteAddrA], v0, v[vgprLocalWriteAddrA], 0x0 // lwFOA = (lwAA + lwAL*(MT0I+PAD))*bpe


/* local write addresses: first offset b */

v_mul_u32_u24 v[vgprLocalWriteAddrB], 0x100, v3    // lwBL**(MTB + PAD)
_v_add_lshl_u32 v[vgprLocalWriteAddrB], v2, v[vgprLocalWriteAddrB], 0x0 // lwFOB = (lwBB + lwBL*(MT1J+PAD))*bpe
_v_add_co_u32 v[vgprLocalWriteAddrB], vcc, 0x8000, v[vgprLocalWriteAddrB] // lwFOB = lwB1J + lwBL*MT1J + LDS_OFFSET_B=32768*1


	;; [unrolled: 1-line block ×7, first 2 shown]
s_waitcnt lgkmcnt(0)                               // wait for 124 bytes of kern args
s_mov_b64 s[sgprSrdC+0:sgprSrdC+0+1], s[sgprAddressC+0:sgprAddressC+0+1] // copy addressC
s_mov_b64 s[sgprSrdD+0:sgprSrdD+0+1], s[sgprAddressD+0:sgprAddressD+0+1] // copy addressD
s_sub_u32 s[sgprSrdA+0], s[sgprAddressA+0], 16     // pre-pad to make room for possible pointer shift
s_subb_u32 s[sgprSrdA+1], s[sgprAddressA+1], 0     // pre-pad to make room for possible pointer shift
s_sub_u32 s[sgprSrdB+0], s[sgprAddressB+0], 16     // pre-pad to make room for possible pointer shift
s_subb_u32 s[sgprSrdB+1], s[sgprAddressB+1], 0     // pre-pad to make room for possible pointer shift

.set AddressD, UNDEF
.set AddressC, UNDEF
.set AddressA, UNDEF
.set AddressB, UNDEF

/* Short circuit condition if Alpha == 0, then sumDims=0 */
v_cmp_eq_f32 vcc, s[sgprAlpha], 0.0                // Alpha == 0.0f ?
s_cbranch_vccz label_AlphaNonZero                  // branch if alpha != 0
s_mov_b32 s[sgprSizesSum+0], 0x0                   // Set summation dim=0 if Alpha == 0
label_AlphaNonZero:
s_mov_b32 s[sgprPackKForV0], 0x0c0c0400            // byte pack value 0 for v_perm_b32
s_mov_b32 s[sgprPackKForV1], 0x0c0c0501            // byte pack value 1 for v_perm_b32
s_mov_b32 s[sgprPackKForV2], 0x0c0c0602            // byte pack value 2 for v_perm_b32
s_mov_b32 s[sgprPackKForV3], 0x0c0c0703            // byte pack value 3 for v_perm_b32


	;; [unrolled: 1-line block ×3, first 2 shown]
/******************************************/
/* Begin setupNewTile, isPap=False           */
/******************************************/


/* global read addresses: work-group */

/* graWorkGroup mapping */
s_mov_b32 s75, 0x8000001L                          // magic number for WGM==16
s_mul_hi_u32 s73, s[sgprWorkGroup1], s75           // s_magic mul
s_mul_i32 s72, s[sgprWorkGroup1], s75              // s_magic mul
s_lshr_b64 s[72:73], s[72:73], 31                  // sMagicDiv
s_mul_i32 s73, s72, 16                             // quotient * non-magic divisor
s_sub_u32 s73, s[sgprWorkGroup1], s73              // WorkGroup1=remainder
s_mul_i32 s73, s73, s[sgprNumWorkGroups0]          // (wg1 % WGM)*nwg0
s_add_u32 s73, s73, s[sgprWorkGroup0]              // wgSerial = wg0 + (wg1 % WGM)*nwg1
s_cmp_ge_u32 s72, s[sgprNumFullBlocks]             // blockId >= numFullBlocks ?
s_cmov_b32 s75, s[sgprMagicNumberWgmRemainder1]    // 
s_cselect_b32 s74, s[sgprWgmRemainder1], 16        // 
s_mul_hi_u32 s3, s73, s75                          // s_magic mul
s_mul_i32 s2, s73, s75                             // s_magic mul
s_lshr_b64 s[2:3], s[2:3], 31                      // sMagicDiv
s_mul_i32 s[sgprWorkGroup1], s[sgprWorkGroup0], s74 // quotient * non-magic divisor
s_sub_u32 s[sgprWorkGroup1], s73, s[sgprWorkGroup1] // WorkGroup1=remainder
s_mul_i32 s72, s72, 16                             // blockId * WGM
s_add_u32 s[sgprWorkGroup1], s[sgprWorkGroup1], s72 // wg1 += blockId * WGM


/* global read addresses: unroll assignment a */

/* v1 */


/* global read addresses: unroll assignment b */

/* v3 */


/* global read addresses: other free assignments */

/* s[sgprWorkGroup2] */


/* global read addresses: tile offsets a */


	;; [unrolled: 1-line block ×3, first 2 shown]
/* global read addresses: tile offsets b */



/* global read addresses: unroll offsets a */


	;; [unrolled: 1-line block ×3, first 2 shown]
/* global read addresses: unroll offsets b */


	;; [unrolled: 1-line block ×3, first 2 shown]
/* global read addresses: final offsets a */

GLOBAL_OFFSET_A vgprGlobalReadOffsetA+0,  0,  1, 4 // gROA_0_0_0_0
s_mul_i32 s[sgprScalarGlobalReadOffsetA+0], s[sgprStrideAL], 4 // compute offset diff (scaled unrollDim)
s_lshl_b32 s[sgprScalarGlobalReadOffsetA+0], s[sgprScalarGlobalReadOffsetA+0], 0x0 // scalar offset *= bytes/element
s_mul_i32 s[sgprScalarGlobalReadOffsetA+1], s[sgprStrideAL], 8 // compute offset diff (scaled unrollDim)
s_lshl_b32 s[sgprScalarGlobalReadOffsetA+1], s[sgprScalarGlobalReadOffsetA+1], 0x0 // scalar offset *= bytes/element
	;; [unrolled: 2-line block ×7, first 2 shown]


/* global read addresses: final offsets b */

GLOBAL_OFFSET_B vgprGlobalReadOffsetB+0,  2,  3, 4 // gROB_0_0_0_0
s_mul_i32 s[sgprScalarGlobalReadOffsetB+0], s[sgprStrideBL], 4 // compute offset diff (scaled unrollDim)
s_lshl_b32 s[sgprScalarGlobalReadOffsetB+0], s[sgprScalarGlobalReadOffsetB+0], 0x0 // scalar offset *= bytes/element
s_mul_i32 s[sgprScalarGlobalReadOffsetB+1], s[sgprStrideBL], 8 // compute offset diff (scaled unrollDim)
s_lshl_b32 s[sgprScalarGlobalReadOffsetB+1], s[sgprScalarGlobalReadOffsetB+1], 0x0 // scalar offset *= bytes/element
	;; [unrolled: 2-line block ×7, first 2 shown]


/* global read addresses: addresses a */

/* max read offset = size[n] * stride[n-1] */
s_mul_hi_u32 s75, s[sgprWorkGroup0], 256           // WorkGroup[01] * MT
s_mul_i32 s74, s[sgprWorkGroup0], 256              // WorkGroup[01] * MT
s_sub_u32 s[sgprShadowLimitA+0], s[sgprTensor2dSizeA], s74 // sub tileStart
s_subb_u32 s[sgprShadowLimitA+1], s[sgprTensor2dSizeA+1], s75 // sub tileStart
s_lshl_b64 s[sgprShadowLimitA:sgprShadowLimitA+1], s[sgprShadowLimitA:sgprShadowLimitA+1], 0x0 // Set limit to use bytes
s_add_u32 s[sgprShadowLimitA+0], s[sgprShadowLimitA+0], 16 // extend limit for pre-pad
s_addc_u32 s[sgprShadowLimitA+1], s[sgprShadowLimitA+1], 0 // extend limit for pre-pad
s_cmp_eq_u32 s[sgprShadowLimitA+1], 0              // are we within 2^32?
s_cselect_b32 s[sgprSrdA+2], s[sgprShadowLimitA+0], BufferLimitA // Move shadow to real if we are within 2^32
s_mul_hi_u32 s73, s[sgprStrideAK], s[sgprWorkGroup2] // Stride*WG
s_mul_i32 s72, s[sgprStrideAK], s[sgprWorkGroup2]  // Stride*WG
s_add_u32 s74, s74, s72                            // accum wg term to tilestart
s_addc_u32 s75, s75, s73                           // accum wg term to tilestart
                                                   // tileStart *= BPE (multiplier is 1, do nothing)
s_add_u32 s[sgprSrdA+0], s[sgprSrdA+0], s74        // SRD base = Address+ tileStart0
s_addc_u32 s[sgprSrdA+1], s[sgprSrdA+1], s75       // SRD base = Address+ tileStart1
s_mov_b32 s[sgprSrdA+3], Srd127_96                 // Set bits 127_96 in SRD


/* global read addresses: addresses b */

/* max read offset = size[n] * stride[n-1] */
s_mul_hi_u32 s75, s[sgprWorkGroup1], 256           // WorkGroup[01] * MT
s_mul_i32 s74, s[sgprWorkGroup1], 256              // WorkGroup[01] * MT
s_sub_u32 s[sgprShadowLimitB+0], s[sgprTensor2dSizeB], s74 // sub tileStart
s_subb_u32 s[sgprShadowLimitB+1], s[sgprTensor2dSizeB+1], s75 // sub tileStart
s_lshl_b64 s[sgprShadowLimitB:sgprShadowLimitB+1], s[sgprShadowLimitB:sgprShadowLimitB+1], 0x0 // Set limit to use bytes
s_add_u32 s[sgprShadowLimitB+0], s[sgprShadowLimitB+0], 16 // extend limit for pre-pad
s_addc_u32 s[sgprShadowLimitB+1], s[sgprShadowLimitB+1], 0 // extend limit for pre-pad
s_cmp_eq_u32 s[sgprShadowLimitB+1], 0              // are we within 2^32?
s_cselect_b32 s[sgprSrdB+2], s[sgprShadowLimitB+0], BufferLimitB // Move shadow to real if we are within 2^32
s_mul_hi_u32 s73, s[sgprStrideBK], s[sgprWorkGroup2] // Stride*WG
s_mul_i32 s72, s[sgprStrideBK], s[sgprWorkGroup2]  // Stride*WG
s_add_u32 s74, s74, s72                            // accum wg term to tilestart
s_addc_u32 s75, s75, s73                           // accum wg term to tilestart
                                                   // tileStart *= BPE (multiplier is 1, do nothing)
s_add_u32 s[sgprSrdB+0], s[sgprSrdB+0], s74        // SRD base = Address+ tileStart0
s_addc_u32 s[sgprSrdB+1], s[sgprSrdB+1], s75       // SRD base = Address+ tileStart1
s_mov_b32 s[sgprSrdB+3], Srd127_96                 // Set bits 127_96 in SRD


/* global read addresses: increments a */

s_mul_i32 s[sgprGlobalReadIncsA+0], DepthU*BpeA, s[sgprStrideAL] // incrA unrollIdx)


/* global read addresses: increments b */

s_mul_i32 s[sgprGlobalReadIncsB+0], DepthU*BpeB, s[sgprStrideBL] // incrB unrollIdx)

/* declare loop num iterations */


s_add_i32 s[sgprLoopCounterL], 127, s[sgprSizesSum+0] // round up SizeSum / DepthU
s_lshr_b32 s[sgprLoopCounterL], s[sgprLoopCounterL], 7 // s[sgprLoopCounterL] = s[sgprLoopCounterL] / 128
s_mov_b32 s[sgprOrigLoopCounter], s[sgprLoopCounterL] // copy loop counter

/* local read addresses: init pointers a */


/* localReadInitPointers */

/* local read addresses: init pointers b */


/* localReadInitPointers */


/* prefetch: global -> local */

s_cmp_eq_u32 s[sgprLoopCounterL], 0                // at last iteration?
s_setprio 0                                        // optimization store
s_cbranch_scc1 ShadowInitStart_10                  // skip to ShadowInitStart iter b/c numIter==0


_buffer_load_b128 v[vgprG2LA+0:vgprG2LA+0+3], v[vgprGlobalReadOffsetA+0], s[sgprSrdA:sgprSrdA+3], 0, offen offset:0 // G -> Reg 0_0_0_0
_buffer_load_b128 v[vgprG2LA+4:vgprG2LA+4+3], v[vgprGlobalReadOffsetA+0], s[sgprSrdA:sgprSrdA+3], s[sgprScalarGlobalReadOffsetA+0], offen offset:0 // G -> Reg 0_0_1_0
_buffer_load_b128 v[vgprG2LA+8:vgprG2LA+8+3], v[vgprGlobalReadOffsetA+0], s[sgprSrdA:sgprSrdA+3], s[sgprScalarGlobalReadOffsetA+1], offen offset:0 // G -> Reg 0_0_2_0
_buffer_load_b128 v[vgprG2LA+12:vgprG2LA+12+3], v[vgprGlobalReadOffsetA+0], s[sgprSrdA:sgprSrdA+3], s[sgprScalarGlobalReadOffsetA+2], offen offset:0 // G -> Reg 0_0_3_0
_buffer_load_b128 v[vgprG2LA+16:vgprG2LA+16+3], v[vgprGlobalReadOffsetA+0], s[sgprSrdA:sgprSrdA+3], s[sgprScalarGlobalReadOffsetA+3], offen offset:0 // G -> Reg 0_0_4_0
_buffer_load_b128 v[vgprG2LA+20:vgprG2LA+20+3], v[vgprGlobalReadOffsetA+0], s[sgprSrdA:sgprSrdA+3], s[sgprScalarGlobalReadOffsetA+4], offen offset:0 // G -> Reg 0_0_5_0
_buffer_load_b128 v[vgprG2LA+24:vgprG2LA+24+3], v[vgprGlobalReadOffsetA+0], s[sgprSrdA:sgprSrdA+3], s[sgprScalarGlobalReadOffsetA+5], offen offset:0 // G -> Reg 0_0_6_0
_buffer_load_b128 v[vgprG2LA+28:vgprG2LA+28+3], v[vgprGlobalReadOffsetA+0], s[sgprSrdA:sgprSrdA+3], s[sgprScalarGlobalReadOffsetA+6], offen offset:0 // G -> Reg 0_0_7_0


_buffer_load_b128 v[vgprG2LB+0:vgprG2LB+0+3], v[vgprGlobalReadOffsetB+0], s[sgprSrdB:sgprSrdB+3], 0, offen offset:0 // G -> Reg 0_0_0_0
_buffer_load_b128 v[vgprG2LB+4:vgprG2LB+4+3], v[vgprGlobalReadOffsetB+0], s[sgprSrdB:sgprSrdB+3], s[sgprScalarGlobalReadOffsetB+0], offen offset:0 // G -> Reg 0_0_1_0
_buffer_load_b128 v[vgprG2LB+8:vgprG2LB+8+3], v[vgprGlobalReadOffsetB+0], s[sgprSrdB:sgprSrdB+3], s[sgprScalarGlobalReadOffsetB+1], offen offset:0 // G -> Reg 0_0_2_0
_buffer_load_b128 v[vgprG2LB+12:vgprG2LB+12+3], v[vgprGlobalReadOffsetB+0], s[sgprSrdB:sgprSrdB+3], s[sgprScalarGlobalReadOffsetB+2], offen offset:0 // G -> Reg 0_0_3_0
_buffer_load_b128 v[vgprG2LB+16:vgprG2LB+16+3], v[vgprGlobalReadOffsetB+0], s[sgprSrdB:sgprSrdB+3], s[sgprScalarGlobalReadOffsetB+3], offen offset:0 // G -> Reg 0_0_4_0
_buffer_load_b128 v[vgprG2LB+20:vgprG2LB+20+3], v[vgprGlobalReadOffsetB+0], s[sgprSrdB:sgprSrdB+3], s[sgprScalarGlobalReadOffsetB+4], offen offset:0 // G -> Reg 0_0_5_0
_buffer_load_b128 v[vgprG2LB+24:vgprG2LB+24+3], v[vgprGlobalReadOffsetB+0], s[sgprSrdB:sgprSrdB+3], s[sgprScalarGlobalReadOffsetB+5], offen offset:0 // G -> Reg 0_0_6_0
_buffer_load_b128 v[vgprG2LB+28:vgprG2LB+28+3], v[vgprGlobalReadOffsetB+0], s[sgprSrdB:sgprSrdB+3], s[sgprScalarGlobalReadOffsetB+6], offen offset:0 // G -> Reg 0_0_7_0


/* global read inc A loopL */
s_add_u32 s[sgprSrdA+0], s[sgprSrdA+0], s[sgprGlobalReadIncsA+0] // gra SRD += inc(lower)
s_addc_u32  s[sgprSrdA+1], s[sgprSrdA+1], 0        // gra SRD += inc(upper)
s_sub_u32 s[sgprShadowLimitA+0], s[sgprShadowLimitA+0], s[sgprGlobalReadIncsA+0] // limit -= inc)
s_subb_u32 s[sgprShadowLimitA+1], s[sgprShadowLimitA+1], 0 // limit -= inc)
s_cmp_eq_u32 s[sgprShadowLimitA+1], 0              // are we within 2^32?
s_cmov_b32 s[sgprSrdA+2], s[sgprShadowLimitA+0]    // Move shadow to real if we are within 2^32

/* global read inc B loopL */
s_add_u32 s[sgprSrdB+0], s[sgprSrdB+0], s[sgprGlobalReadIncsB+0] // gra SRD += inc(lower)
s_addc_u32  s[sgprSrdB+1], s[sgprSrdB+1], 0        // gra SRD += inc(upper)
s_sub_u32 s[sgprShadowLimitB+0], s[sgprShadowLimitB+0], s[sgprGlobalReadIncsB+0] // limit -= inc)
s_subb_u32 s[sgprShadowLimitB+1], s[sgprShadowLimitB+1], 0 // limit -= inc)
s_cmp_eq_u32 s[sgprShadowLimitB+1], 0              // are we within 2^32?
s_cmov_b32 s[sgprSrdB+2], s[sgprShadowLimitB+0]    // Move shadow to real if we are within 2^32


/******************************************/
/* End setupNewTile, isPap=False             */
/******************************************/

ShadowInitStart_10: // 

s_mov_b32 s[sgprSrdD+2], BufferOOB                 // 
s_mov_b32 s[sgprSrdD+3], Srd127_96                 // Set bits 127_96 in post-loop SRD

s_mov_b32 s[sgprSrdC+2], BufferOOB                 // 
s_mov_b32 s[sgprSrdC+3], Srd127_96                 // Set bits 127_96 in post-loop SRD


s_mul_i32 s74, MT1, s[sgprWorkGroup1]              // <- wg1*MT1
s_mul_hi_u32 s73, s74, s[sgprStrideC1J]            // CScale s74 by Stride
s_mul_i32 s72, s74, s[sgprStrideC1J]               // CScale s74 by Stride
s_lshl_b64 s[72:73], s[72:73], 0                   // scale by bpe
s_add_u32 s[sgprSrdC+0], s[sgprSrdC+0], s72        // add lo to SRD
s_addc_u32 s[sgprSrdC+1], s[sgprSrdC+1], s73       // add hi to SRD
s_mul_hi_u32 s73, s74, s[sgprStrideD1J]            // Scale s74 by Stride
s_mul_i32 s72, s74, s[sgprStrideD1J]               // Scale s74 by Stride
s_lshl_b64 s[72:73], s[72:73], 0                   // scale by bpe
s_add_u32 s[sgprSrdD+0], s[sgprSrdD+0], s72        // add lo to SRD
s_addc_u32 s[sgprSrdD+1], s[sgprSrdD+1], s73       // add hi to SRD

s_mul_hi_u32 s73, s[sgprWorkGroup2], s[sgprStrideCK] // CScale s[sgprWorkGroup2] by Stride
s_mul_i32 s72, s[sgprWorkGroup2], s[sgprStrideCK]  // CScale s[sgprWorkGroup2] by Stride
s_lshl_b64 s[72:73], s[72:73], 0                   // scale by bpe
s_add_u32 s[sgprSrdC+0], s[sgprSrdC+0], s72        // add lo to SRD
s_addc_u32 s[sgprSrdC+1], s[sgprSrdC+1], s73       // add hi to SRD
s_mul_hi_u32 s73, s[sgprWorkGroup2], s[sgprStrideDK] // Scale s[sgprWorkGroup2] by Stride
s_mul_i32 s72, s[sgprWorkGroup2], s[sgprStrideDK]  // Scale s[sgprWorkGroup2] by Stride
s_lshl_b64 s[72:73], s[72:73], 0                   // scale by bpe
s_add_u32 s[sgprSrdD+0], s[sgprSrdD+0], s72        // add lo to SRD
s_addc_u32 s[sgprSrdD+1], s[sgprSrdD+1], s73       // add hi to SRD


	;; [unrolled: 1-line block ×3, first 2 shown]
/* initC: remove C-tile 0-0 from pool */

/* initC: remove AB-tile 0-160 from pool */
v_accvgpr_write acc0, 0x0                          // initC
v_accvgpr_write acc1, 0x0                          // initC
v_accvgpr_write acc2, 0x0                          // initC
v_accvgpr_write acc3, 0x0                          // initC
v_accvgpr_write acc4, 0x0                          // initC
v_accvgpr_write acc5, 0x0                          // initC
v_accvgpr_write acc6, 0x0                          // initC
v_accvgpr_write acc7, 0x0                          // initC
v_accvgpr_write acc8, 0x0                          // initC
v_accvgpr_write acc9, 0x0                          // initC
v_accvgpr_write acc10, 0x0                         // initC
v_accvgpr_write acc11, 0x0                         // initC
v_accvgpr_write acc12, 0x0                         // initC
v_accvgpr_write acc13, 0x0                         // initC
v_accvgpr_write acc14, 0x0                         // initC
v_accvgpr_write acc15, 0x0                         // initC
v_accvgpr_write acc16, 0x0                         // initC
v_accvgpr_write acc17, 0x0                         // initC
v_accvgpr_write acc18, 0x0                         // initC
v_accvgpr_write acc19, 0x0                         // initC
v_accvgpr_write acc20, 0x0                         // initC
v_accvgpr_write acc21, 0x0                         // initC
v_accvgpr_write acc22, 0x0                         // initC
v_accvgpr_write acc23, 0x0                         // initC
v_accvgpr_write acc24, 0x0                         // initC
v_accvgpr_write acc25, 0x0                         // initC
v_accvgpr_write acc26, 0x0                         // initC
v_accvgpr_write acc27, 0x0                         // initC
v_accvgpr_write acc28, 0x0                         // initC
v_accvgpr_write acc29, 0x0                         // initC
v_accvgpr_write acc30, 0x0                         // initC
v_accvgpr_write acc31, 0x0                         // initC
v_accvgpr_write acc32, 0x0                         // initC
v_accvgpr_write acc33, 0x0                         // initC
v_accvgpr_write acc34, 0x0                         // initC
v_accvgpr_write acc35, 0x0                         // initC
v_accvgpr_write acc36, 0x0                         // initC
v_accvgpr_write acc37, 0x0                         // initC
v_accvgpr_write acc38, 0x0                         // initC
v_accvgpr_write acc39, 0x0                         // initC
v_accvgpr_write acc40, 0x0                         // initC
v_accvgpr_write acc41, 0x0                         // initC
v_accvgpr_write acc42, 0x0                         // initC
v_accvgpr_write acc43, 0x0                         // initC
v_accvgpr_write acc44, 0x0                         // initC
v_accvgpr_write acc45, 0x0                         // initC
v_accvgpr_write acc46, 0x0                         // initC
v_accvgpr_write acc47, 0x0                         // initC
v_accvgpr_write acc48, 0x0                         // initC
v_accvgpr_write acc49, 0x0                         // initC
v_accvgpr_write acc50, 0x0                         // initC
v_accvgpr_write acc51, 0x0                         // initC
v_accvgpr_write acc52, 0x0                         // initC
v_accvgpr_write acc53, 0x0                         // initC
v_accvgpr_write acc54, 0x0                         // initC
v_accvgpr_write acc55, 0x0                         // initC
v_accvgpr_write acc56, 0x0                         // initC
v_accvgpr_write acc57, 0x0                         // initC
v_accvgpr_write acc58, 0x0                         // initC
v_accvgpr_write acc59, 0x0                         // initC
v_accvgpr_write acc60, 0x0                         // initC
v_accvgpr_write acc61, 0x0                         // initC
v_accvgpr_write acc62, 0x0                         // initC
v_accvgpr_write acc63, 0x0                         // initC
v_accvgpr_write acc64, 0x0                         // initC
v_accvgpr_write acc65, 0x0                         // initC
v_accvgpr_write acc66, 0x0                         // initC
v_accvgpr_write acc67, 0x0                         // initC
v_accvgpr_write acc68, 0x0                         // initC
v_accvgpr_write acc69, 0x0                         // initC
v_accvgpr_write acc70, 0x0                         // initC
v_accvgpr_write acc71, 0x0                         // initC
v_accvgpr_write acc72, 0x0                         // initC
v_accvgpr_write acc73, 0x0                         // initC
v_accvgpr_write acc74, 0x0                         // initC
v_accvgpr_write acc75, 0x0                         // initC
v_accvgpr_write acc76, 0x0                         // initC
v_accvgpr_write acc77, 0x0                         // initC
v_accvgpr_write acc78, 0x0                         // initC
v_accvgpr_write acc79, 0x0                         // initC
v_accvgpr_write acc80, 0x0                         // initC
v_accvgpr_write acc81, 0x0                         // initC
v_accvgpr_write acc82, 0x0                         // initC
v_accvgpr_write acc83, 0x0                         // initC
v_accvgpr_write acc84, 0x0                         // initC
v_accvgpr_write acc85, 0x0                         // initC
v_accvgpr_write acc86, 0x0                         // initC
v_accvgpr_write acc87, 0x0                         // initC
v_accvgpr_write acc88, 0x0                         // initC
v_accvgpr_write acc89, 0x0                         // initC
v_accvgpr_write acc90, 0x0                         // initC
v_accvgpr_write acc91, 0x0                         // initC
v_accvgpr_write acc92, 0x0                         // initC
v_accvgpr_write acc93, 0x0                         // initC
v_accvgpr_write acc94, 0x0                         // initC
v_accvgpr_write acc95, 0x0                         // initC
v_accvgpr_write acc96, 0x0                         // initC
v_accvgpr_write acc97, 0x0                         // initC
v_accvgpr_write acc98, 0x0                         // initC
v_accvgpr_write acc99, 0x0                         // initC
v_accvgpr_write acc100, 0x0                        // initC
v_accvgpr_write acc101, 0x0                        // initC
v_accvgpr_write acc102, 0x0                        // initC
v_accvgpr_write acc103, 0x0                        // initC
v_accvgpr_write acc104, 0x0                        // initC
v_accvgpr_write acc105, 0x0                        // initC
v_accvgpr_write acc106, 0x0                        // initC
v_accvgpr_write acc107, 0x0                        // initC
v_accvgpr_write acc108, 0x0                        // initC
v_accvgpr_write acc109, 0x0                        // initC
v_accvgpr_write acc110, 0x0                        // initC
v_accvgpr_write acc111, 0x0                        // initC
v_accvgpr_write acc112, 0x0                        // initC
v_accvgpr_write acc113, 0x0                        // initC
v_accvgpr_write acc114, 0x0                        // initC
v_accvgpr_write acc115, 0x0                        // initC
v_accvgpr_write acc116, 0x0                        // initC
v_accvgpr_write acc117, 0x0                        // initC
v_accvgpr_write acc118, 0x0                        // initC
v_accvgpr_write acc119, 0x0                        // initC
v_accvgpr_write acc120, 0x0                        // initC
v_accvgpr_write acc121, 0x0                        // initC
v_accvgpr_write acc122, 0x0                        // initC
v_accvgpr_write acc123, 0x0                        // initC
v_accvgpr_write acc124, 0x0                        // initC
v_accvgpr_write acc125, 0x0                        // initC
v_accvgpr_write acc126, 0x0                        // initC
v_accvgpr_write acc127, 0x0                        // initC
v_accvgpr_write acc128, 0x0                        // initC
v_accvgpr_write acc129, 0x0                        // initC
v_accvgpr_write acc130, 0x0                        // initC
v_accvgpr_write acc131, 0x0                        // initC
v_accvgpr_write acc132, 0x0                        // initC
v_accvgpr_write acc133, 0x0                        // initC
v_accvgpr_write acc134, 0x0                        // initC
v_accvgpr_write acc135, 0x0                        // initC
v_accvgpr_write acc136, 0x0                        // initC
v_accvgpr_write acc137, 0x0                        // initC
v_accvgpr_write acc138, 0x0                        // initC
v_accvgpr_write acc139, 0x0                        // initC
v_accvgpr_write acc140, 0x0                        // initC
v_accvgpr_write acc141, 0x0                        // initC
v_accvgpr_write acc142, 0x0                        // initC
v_accvgpr_write acc143, 0x0                        // initC
v_accvgpr_write acc144, 0x0                        // initC
v_accvgpr_write acc145, 0x0                        // initC
v_accvgpr_write acc146, 0x0                        // initC
v_accvgpr_write acc147, 0x0                        // initC
v_accvgpr_write acc148, 0x0                        // initC
v_accvgpr_write acc149, 0x0                        // initC
v_accvgpr_write acc150, 0x0                        // initC
v_accvgpr_write acc151, 0x0                        // initC
v_accvgpr_write acc152, 0x0                        // initC
v_accvgpr_write acc153, 0x0                        // initC
v_accvgpr_write acc154, 0x0                        // initC
v_accvgpr_write acc155, 0x0                        // initC
v_accvgpr_write acc156, 0x0                        // initC
v_accvgpr_write acc157, 0x0                        // initC
v_accvgpr_write acc158, 0x0                        // initC
v_accvgpr_write acc159, 0x0                        // initC
v_accvgpr_write acc160, 0x0                        // initC
v_accvgpr_write acc161, 0x0                        // initC
v_accvgpr_write acc162, 0x0                        // initC
v_accvgpr_write acc163, 0x0                        // initC
v_accvgpr_write acc164, 0x0                        // initC
v_accvgpr_write acc165, 0x0                        // initC
v_accvgpr_write acc166, 0x0                        // initC
v_accvgpr_write acc167, 0x0                        // initC
v_accvgpr_write acc168, 0x0                        // initC
v_accvgpr_write acc169, 0x0                        // initC
v_accvgpr_write acc170, 0x0                        // initC
v_accvgpr_write acc171, 0x0                        // initC
v_accvgpr_write acc172, 0x0                        // initC
v_accvgpr_write acc173, 0x0                        // initC
v_accvgpr_write acc174, 0x0                        // initC
v_accvgpr_write acc175, 0x0                        // initC
v_accvgpr_write acc176, 0x0                        // initC
v_accvgpr_write acc177, 0x0                        // initC
v_accvgpr_write acc178, 0x0                        // initC
v_accvgpr_write acc179, 0x0                        // initC
v_accvgpr_write acc180, 0x0                        // initC
v_accvgpr_write acc181, 0x0                        // initC
v_accvgpr_write acc182, 0x0                        // initC
v_accvgpr_write acc183, 0x0                        // initC
v_accvgpr_write acc184, 0x0                        // initC
v_accvgpr_write acc185, 0x0                        // initC
v_accvgpr_write acc186, 0x0                        // initC
v_accvgpr_write acc187, 0x0                        // initC
v_accvgpr_write acc188, 0x0                        // initC
v_accvgpr_write acc189, 0x0                        // initC
v_accvgpr_write acc190, 0x0                        // initC
v_accvgpr_write acc191, 0x0                        // initC
v_accvgpr_write acc192, 0x0                        // initC
v_accvgpr_write acc193, 0x0                        // initC
v_accvgpr_write acc194, 0x0                        // initC
v_accvgpr_write acc195, 0x0                        // initC
v_accvgpr_write acc196, 0x0                        // initC
v_accvgpr_write acc197, 0x0                        // initC
v_accvgpr_write acc198, 0x0                        // initC
v_accvgpr_write acc199, 0x0                        // initC
v_accvgpr_write acc200, 0x0                        // initC
v_accvgpr_write acc201, 0x0                        // initC
v_accvgpr_write acc202, 0x0                        // initC
v_accvgpr_write acc203, 0x0                        // initC
v_accvgpr_write acc204, 0x0                        // initC
v_accvgpr_write acc205, 0x0                        // initC
v_accvgpr_write acc206, 0x0                        // initC
v_accvgpr_write acc207, 0x0                        // initC
v_accvgpr_write acc208, 0x0                        // initC
v_accvgpr_write acc209, 0x0                        // initC
v_accvgpr_write acc210, 0x0                        // initC
v_accvgpr_write acc211, 0x0                        // initC
v_accvgpr_write acc212, 0x0                        // initC
v_accvgpr_write acc213, 0x0                        // initC
v_accvgpr_write acc214, 0x0                        // initC
v_accvgpr_write acc215, 0x0                        // initC
v_accvgpr_write acc216, 0x0                        // initC
v_accvgpr_write acc217, 0x0                        // initC
v_accvgpr_write acc218, 0x0                        // initC
v_accvgpr_write acc219, 0x0                        // initC
v_accvgpr_write acc220, 0x0                        // initC
v_accvgpr_write acc221, 0x0                        // initC
v_accvgpr_write acc222, 0x0                        // initC
v_accvgpr_write acc223, 0x0                        // initC
v_accvgpr_write acc224, 0x0                        // initC
v_accvgpr_write acc225, 0x0                        // initC
v_accvgpr_write acc226, 0x0                        // initC
v_accvgpr_write acc227, 0x0                        // initC
v_accvgpr_write acc228, 0x0                        // initC
v_accvgpr_write acc229, 0x0                        // initC
v_accvgpr_write acc230, 0x0                        // initC
v_accvgpr_write acc231, 0x0                        // initC
v_accvgpr_write acc232, 0x0                        // initC
v_accvgpr_write acc233, 0x0                        // initC
v_accvgpr_write acc234, 0x0                        // initC
v_accvgpr_write acc235, 0x0                        // initC
v_accvgpr_write acc236, 0x0                        // initC
v_accvgpr_write acc237, 0x0                        // initC
v_accvgpr_write acc238, 0x0                        // initC
v_accvgpr_write acc239, 0x0                        // initC
v_accvgpr_write acc240, 0x0                        // initC
v_accvgpr_write acc241, 0x0                        // initC
v_accvgpr_write acc242, 0x0                        // initC
v_accvgpr_write acc243, 0x0                        // initC
v_accvgpr_write acc244, 0x0                        // initC
v_accvgpr_write acc245, 0x0                        // initC
v_accvgpr_write acc246, 0x0                        // initC
v_accvgpr_write acc247, 0x0                        // initC
v_accvgpr_write acc248, 0x0                        // initC
v_accvgpr_write acc249, 0x0                        // initC
v_accvgpr_write acc250, 0x0                        // initC
v_accvgpr_write acc251, 0x0                        // initC
v_accvgpr_write acc252, 0x0                        // initC
v_accvgpr_write acc253, 0x0                        // initC
v_accvgpr_write acc254, 0x0                        // initC
v_accvgpr_write acc255, 0x0                        // initC

s_cmp_eq_u32 s[sgprLoopCounterL], 0                // at last iteration?

/* after InitC, skip to end of prefetch last iter if numIter==0 */
s_cbranch_scc0 label_NoBranch_11                   // Only branch on scc1
s_getpc_B64 s[72:73]                               // addr of next instr
s_add_i32 s74, PrefetchGlobalLastIterEnd_5, 0x4    // target branch offset
s_add_u32 s72, s72, s74                            // add target branch offset
s_addc_u32 s73, s73, 0                             // add high and carry
s_setpc_b64 s[72:73]                               // branch to PrefetchGlobalLastIterEnd_5
label_NoBranch_11:

s_waitcnt vmcnt(0)                                 // lgkmcnt=-1 vmcnt=0 8wait for global read


/* local write a */
_ds_store_b128 v[vgprLocalWriteAddrA], v[vgprG2LA+0:vgprG2LA+0+3] offset:0 // lwoA_0_0_0_0 = (0*LSCA) + (0*LSPA)(*MT0I+PAD) = 0
_ds_store_b128 v[vgprLocalWriteAddrA], v[vgprG2LA+4:vgprG2LA+4+3] offset:1024 // lwoA_0_0_1_0 = (0*LSCA) + (1*LSPA)(*MT0I+PAD) = 1024
_ds_store_b128 v[vgprLocalWriteAddrA], v[vgprG2LA+8:vgprG2LA+8+3] offset:2048 // lwoA_0_0_2_0 = (0*LSCA) + (2*LSPA)(*MT0I+PAD) = 2048
_ds_store_b128 v[vgprLocalWriteAddrA], v[vgprG2LA+12:vgprG2LA+12+3] offset:3072 // lwoA_0_0_3_0 = (0*LSCA) + (3*LSPA)(*MT0I+PAD) = 3072
_ds_store_b128 v[vgprLocalWriteAddrA], v[vgprG2LA+16:vgprG2LA+16+3] offset:4096 // lwoA_0_0_4_0 = (0*LSCA) + (4*LSPA)(*MT0I+PAD) = 4096
_ds_store_b128 v[vgprLocalWriteAddrA], v[vgprG2LA+20:vgprG2LA+20+3] offset:5120 // lwoA_0_0_5_0 = (0*LSCA) + (5*LSPA)(*MT0I+PAD) = 5120
_ds_store_b128 v[vgprLocalWriteAddrA], v[vgprG2LA+24:vgprG2LA+24+3] offset:6144 // lwoA_0_0_6_0 = (0*LSCA) + (6*LSPA)(*MT0I+PAD) = 6144
_ds_store_b128 v[vgprLocalWriteAddrA], v[vgprG2LA+28:vgprG2LA+28+3] offset:7168 // lwoA_0_0_7_0 = (0*LSCA) + (7*LSPA)(*MT0I+PAD) = 7168

/* local write b */
_ds_store_b128 v[vgprLocalWriteAddrB], v[vgprG2LB+0:vgprG2LB+0+3] offset:0 // lwoB_0_0_0_0 = (0*LSCB) + (0*LSPB)(*MT1J+PAD) = 0
_ds_store_b128 v[vgprLocalWriteAddrB], v[vgprG2LB+4:vgprG2LB+4+3] offset:1024 // lwoB_0_0_1_0 = (0*LSCB) + (1*LSPB)(*MT1J+PAD) = 1024
_ds_store_b128 v[vgprLocalWriteAddrB], v[vgprG2LB+8:vgprG2LB+8+3] offset:2048 // lwoB_0_0_2_0 = (0*LSCB) + (2*LSPB)(*MT1J+PAD) = 2048
_ds_store_b128 v[vgprLocalWriteAddrB], v[vgprG2LB+12:vgprG2LB+12+3] offset:3072 // lwoB_0_0_3_0 = (0*LSCB) + (3*LSPB)(*MT1J+PAD) = 3072
_ds_store_b128 v[vgprLocalWriteAddrB], v[vgprG2LB+16:vgprG2LB+16+3] offset:4096 // lwoB_0_0_4_0 = (0*LSCB) + (4*LSPB)(*MT1J+PAD) = 4096
_ds_store_b128 v[vgprLocalWriteAddrB], v[vgprG2LB+20:vgprG2LB+20+3] offset:5120 // lwoB_0_0_5_0 = (0*LSCB) + (5*LSPB)(*MT1J+PAD) = 5120
_ds_store_b128 v[vgprLocalWriteAddrB], v[vgprG2LB+24:vgprG2LB+24+3] offset:6144 // lwoB_0_0_6_0 = (0*LSCB) + (6*LSPB)(*MT1J+PAD) = 6144
_ds_store_b128 v[vgprLocalWriteAddrB], v[vgprG2LB+28:vgprG2LB+28+3] offset:7168 // lwoB_0_0_7_0 = (0*LSCB) + (7*LSPB)(*MT1J+PAD) = 7168


/* local write swap a */



/* local write swap b */


	;; [unrolled: 1-line block ×4, first 2 shown]
s_cmp_eq_u32 s[sgprLoopCounterL] 0x1               // PGR=2 but only 1 loop
s_cbranch_scc1 label_0012                          // PGR=2 but only 1 loop


_buffer_load_b128 v[vgprG2LA+0:vgprG2LA+0+3], v[vgprGlobalReadOffsetA+0], s[sgprSrdA:sgprSrdA+3], 0, offen offset:0 // G -> Reg 0_0_0_0
_buffer_load_b128 v[vgprG2LA+4:vgprG2LA+4+3], v[vgprGlobalReadOffsetA+0], s[sgprSrdA:sgprSrdA+3], s[sgprScalarGlobalReadOffsetA+0], offen offset:0 // G -> Reg 0_0_1_0
_buffer_load_b128 v[vgprG2LA+8:vgprG2LA+8+3], v[vgprGlobalReadOffsetA+0], s[sgprSrdA:sgprSrdA+3], s[sgprScalarGlobalReadOffsetA+1], offen offset:0 // G -> Reg 0_0_2_0
_buffer_load_b128 v[vgprG2LA+12:vgprG2LA+12+3], v[vgprGlobalReadOffsetA+0], s[sgprSrdA:sgprSrdA+3], s[sgprScalarGlobalReadOffsetA+2], offen offset:0 // G -> Reg 0_0_3_0
_buffer_load_b128 v[vgprG2LA+16:vgprG2LA+16+3], v[vgprGlobalReadOffsetA+0], s[sgprSrdA:sgprSrdA+3], s[sgprScalarGlobalReadOffsetA+3], offen offset:0 // G -> Reg 0_0_4_0
_buffer_load_b128 v[vgprG2LA+20:vgprG2LA+20+3], v[vgprGlobalReadOffsetA+0], s[sgprSrdA:sgprSrdA+3], s[sgprScalarGlobalReadOffsetA+4], offen offset:0 // G -> Reg 0_0_5_0
_buffer_load_b128 v[vgprG2LA+24:vgprG2LA+24+3], v[vgprGlobalReadOffsetA+0], s[sgprSrdA:sgprSrdA+3], s[sgprScalarGlobalReadOffsetA+5], offen offset:0 // G -> Reg 0_0_6_0
_buffer_load_b128 v[vgprG2LA+28:vgprG2LA+28+3], v[vgprGlobalReadOffsetA+0], s[sgprSrdA:sgprSrdA+3], s[sgprScalarGlobalReadOffsetA+6], offen offset:0 // G -> Reg 0_0_7_0


_buffer_load_b128 v[vgprG2LB+0:vgprG2LB+0+3], v[vgprGlobalReadOffsetB+0], s[sgprSrdB:sgprSrdB+3], 0, offen offset:0 // G -> Reg 0_0_0_0
_buffer_load_b128 v[vgprG2LB+4:vgprG2LB+4+3], v[vgprGlobalReadOffsetB+0], s[sgprSrdB:sgprSrdB+3], s[sgprScalarGlobalReadOffsetB+0], offen offset:0 // G -> Reg 0_0_1_0
_buffer_load_b128 v[vgprG2LB+8:vgprG2LB+8+3], v[vgprGlobalReadOffsetB+0], s[sgprSrdB:sgprSrdB+3], s[sgprScalarGlobalReadOffsetB+1], offen offset:0 // G -> Reg 0_0_2_0
_buffer_load_b128 v[vgprG2LB+12:vgprG2LB+12+3], v[vgprGlobalReadOffsetB+0], s[sgprSrdB:sgprSrdB+3], s[sgprScalarGlobalReadOffsetB+2], offen offset:0 // G -> Reg 0_0_3_0
_buffer_load_b128 v[vgprG2LB+16:vgprG2LB+16+3], v[vgprGlobalReadOffsetB+0], s[sgprSrdB:sgprSrdB+3], s[sgprScalarGlobalReadOffsetB+3], offen offset:0 // G -> Reg 0_0_4_0
_buffer_load_b128 v[vgprG2LB+20:vgprG2LB+20+3], v[vgprGlobalReadOffsetB+0], s[sgprSrdB:sgprSrdB+3], s[sgprScalarGlobalReadOffsetB+4], offen offset:0 // G -> Reg 0_0_5_0
_buffer_load_b128 v[vgprG2LB+24:vgprG2LB+24+3], v[vgprGlobalReadOffsetB+0], s[sgprSrdB:sgprSrdB+3], s[sgprScalarGlobalReadOffsetB+5], offen offset:0 // G -> Reg 0_0_6_0
_buffer_load_b128 v[vgprG2LB+28:vgprG2LB+28+3], v[vgprGlobalReadOffsetB+0], s[sgprSrdB:sgprSrdB+3], s[sgprScalarGlobalReadOffsetB+6], offen offset:0 // G -> Reg 0_0_7_0

label_0012:                                        // 

s_waitcnt lgkmcnt(0)                               // lgkmcnt=0 vmcnt=-10prefetch wait for local write

// Skip force waitcnt0
s_barrier //


/* local read prefetch a */

_ds_load_b64 v[vgprValuA_X0_I0_D0+0:vgprValuA_X0_I0_D0+0+1], v[vgprLocalReadAddrA] offset:0 // L -> Reg lro=0 swapByteOffset=0 ti=256 vIdx=0 rIdx=0 oIdx=0 buffer=0 iui=0
_ds_load_b64 v[vgprValuA_X0_I0_D1+0:vgprValuA_X0_I0_D1+0+1], v[vgprLocalReadAddrA] offset:256 // L -> Reg lro=0 swapByteOffset=0 ti=256 vIdx=0 rIdx=1 oIdx=0 buffer=0 iui=0
_ds_load_b64 v[vgprValuA_X0_I0_D2+0:vgprValuA_X0_I0_D2+0+1], v[vgprLocalReadAddrA] offset:512 // L -> Reg lro=0 swapByteOffset=0 ti=256 vIdx=0 rIdx=2 oIdx=0 buffer=0 iui=0
_ds_load_b64 v[vgprValuA_X0_I0_D3+0:vgprValuA_X0_I0_D3+0+1], v[vgprLocalReadAddrA] offset:768 // L -> Reg lro=0 swapByteOffset=0 ti=256 vIdx=0 rIdx=3 oIdx=0 buffer=0 iui=0
_ds_load_b64 v[vgprValuA_X0_I0_D4+0:vgprValuA_X0_I0_D4+0+1], v[vgprLocalReadAddrA] offset:1024 // L -> Reg lro=0 swapByteOffset=0 ti=256 vIdx=0 rIdx=4 oIdx=0 buffer=0 iui=0
_ds_load_b64 v[vgprValuA_X0_I0_D5+0:vgprValuA_X0_I0_D5+0+1], v[vgprLocalReadAddrA] offset:1280 // L -> Reg lro=0 swapByteOffset=0 ti=256 vIdx=0 rIdx=5 oIdx=0 buffer=0 iui=0
_ds_load_b64 v[vgprValuA_X0_I0_D6+0:vgprValuA_X0_I0_D6+0+1], v[vgprLocalReadAddrA] offset:1536 // L -> Reg lro=0 swapByteOffset=0 ti=256 vIdx=0 rIdx=6 oIdx=0 buffer=0 iui=0
_ds_load_b64 v[vgprValuA_X0_I0_D7+0:vgprValuA_X0_I0_D7+0+1], v[vgprLocalReadAddrA] offset:1792 // L -> Reg lro=0 swapByteOffset=0 ti=256 vIdx=0 rIdx=7 oIdx=0 buffer=0 iui=0


/* local read prefetch b */

_ds_load_b64 v[vgprValuB_X0_I0_D0+0:vgprValuB_X0_I0_D0+0+1], v[vgprLocalReadAddrB] offset:0 // L -> Reg lro=0 swapByteOffset=0 ti=256 vIdx=0 rIdx=0 oIdx=0 buffer=0 iui=0
_ds_load_b64 v[vgprValuB_X0_I0_D1+0:vgprValuB_X0_I0_D1+0+1], v[vgprLocalReadAddrB] offset:256 // L -> Reg lro=0 swapByteOffset=0 ti=256 vIdx=0 rIdx=1 oIdx=0 buffer=0 iui=0
_ds_load_b64 v[vgprValuB_X0_I0_D2+0:vgprValuB_X0_I0_D2+0+1], v[vgprLocalReadAddrB] offset:512 // L -> Reg lro=0 swapByteOffset=0 ti=256 vIdx=0 rIdx=2 oIdx=0 buffer=0 iui=0
_ds_load_b64 v[vgprValuB_X0_I0_D3+0:vgprValuB_X0_I0_D3+0+1], v[vgprLocalReadAddrB] offset:768 // L -> Reg lro=0 swapByteOffset=0 ti=256 vIdx=0 rIdx=3 oIdx=0 buffer=0 iui=0
_ds_load_b64 v[vgprValuB_X0_I0_D4+0:vgprValuB_X0_I0_D4+0+1], v[vgprLocalReadAddrB] offset:1024 // L -> Reg lro=0 swapByteOffset=0 ti=256 vIdx=0 rIdx=4 oIdx=0 buffer=0 iui=0
_ds_load_b64 v[vgprValuB_X0_I0_D5+0:vgprValuB_X0_I0_D5+0+1], v[vgprLocalReadAddrB] offset:1280 // L -> Reg lro=0 swapByteOffset=0 ti=256 vIdx=0 rIdx=5 oIdx=0 buffer=0 iui=0
_ds_load_b64 v[vgprValuB_X0_I0_D6+0:vgprValuB_X0_I0_D6+0+1], v[vgprLocalReadAddrB] offset:1536 // L -> Reg lro=0 swapByteOffset=0 ti=256 vIdx=0 rIdx=6 oIdx=0 buffer=0 iui=0
_ds_load_b64 v[vgprValuB_X0_I0_D7+0:vgprValuB_X0_I0_D7+0+1], v[vgprLocalReadAddrB] offset:1792 // L -> Reg lro=0 swapByteOffset=0 ti=256 vIdx=0 rIdx=7 oIdx=0 buffer=0 iui=0


/* local read inc a */

/* N/A, lro->8192 */
/* self.localReadDoCntA 1 self.localReadDoCntB 1 */


/* local read inc b */

/* N/A, lro->8192 */
/* self.localReadDoCntA 1 self.localReadDoCntB 1 */


	;; [unrolled: 1-line block ×3, first 2 shown]
/******************************************/
/* Unrolled Loop(s) - Begin               */
/******************************************/

openLoopL_13:
s_cmp_eq_u32 s[sgprLoopCounterL], 0x1              // LoopCounterL < EndCounter
s_cbranch_scc1 label_0014                          // PGR=2 but only 1 loop, toPGR1
s_cmp_le_u32 s[sgprLoopCounterL], 0x2              // LoopCounterL < EndCounter
s_cbranch_scc1 LoopEndL_evenexit_4                 // do not enter LoopL
LoopBeginL_1:


/******************************************/
/* Unrolled Loop 1/2 - Begin              */
/******************************************/

label_0015: // LoopCopy1 


/* Begin Each Unroll: Check VGPR.checkin for INT8 LW */


	;; [unrolled: 1-line block ×3, first 2 shown]
/* iter 0 */

/*  grEndMfmaIndex:12, lwStartMfmaIndex:62, lwEndMfmaIndex:229  */
/*  numMfmaForLR:21, barrierMfmaIndex:234, LocalWritePerMfma:0.090 */
/*  mfmaIndex:0  */
s_waitcnt lgkmcnt(0)                               // lgkmcnt=0 vmcnt=-1wait for prior local read local write old=0, new=0 newLW=0 newLR=0
/* pack scheduling: packAIdx:6, packBIdx:6 */
v_perm_b32 v[vgprValuA_X0_I0+0], v[vgprValuA_X0_I0_D1+0], v[vgprValuA_X0_I0_D0+0], s[sgprPackKForV0] // select K=01 for vector=0
v_perm_b32 v[vgprPackTemp], v[vgprValuA_X0_I0_D3+0], v[vgprValuA_X0_I0_D2+0], s[sgprPackKForV0] // select K=23 for vector=0
_v_lshl_or_b32 v[vgprValuA_X0_I0+0], v[vgprPackTemp], 0x10, v[vgprValuA_X0_I0+0] // pack two half Vgpr to one Vgpr
v_perm_b32 v[vgprValuA_X0_I0+1], v[vgprValuA_X0_I0_D5+0], v[vgprValuA_X0_I0_D4+0], s[sgprPackKForV0] // select K=45 for vector=0
v_perm_b32 v[vgprPackTemp], v[vgprValuA_X0_I0_D7+0], v[vgprValuA_X0_I0_D6+0], s[sgprPackKForV0] // select K=67 for vector=0
_v_lshl_or_b32 v[vgprValuA_X0_I0+1], v[vgprPackTemp], 0x10, v[vgprValuA_X0_I0+1] // pack two half Vgpr to one Vgpr
v_perm_b32 v[vgprValuB_X0_I0+0], v[vgprValuB_X0_I0_D1+0], v[vgprValuB_X0_I0_D0+0], s[sgprPackKForV0] // select K=01 for vector=0
v_perm_b32 v[vgprPackTemp], v[vgprValuB_X0_I0_D3+0], v[vgprValuB_X0_I0_D2+0], s[sgprPackKForV0] // select K=23 for vector=0
_v_lshl_or_b32 v[vgprValuB_X0_I0+0], v[vgprPackTemp], 0x10, v[vgprValuB_X0_I0+0] // pack two half Vgpr to one Vgpr
v_perm_b32 v[vgprValuB_X0_I0+1], v[vgprValuB_X0_I0_D5+0], v[vgprValuB_X0_I0_D4+0], s[sgprPackKForV0] // select K=45 for vector=0
v_perm_b32 v[vgprPackTemp], v[vgprValuB_X0_I0_D7+0], v[vgprValuB_X0_I0_D6+0], s[sgprPackKForV0] // select K=67 for vector=0
_v_lshl_or_b32 v[vgprValuB_X0_I0+1], v[vgprPackTemp], 0x10, v[vgprValuB_X0_I0+1] // pack two half Vgpr to one Vgpr
v_perm_b32 v[vgprValuA_X0_I0+2], v[vgprValuA_X0_I0_D1+0], v[vgprValuA_X0_I0_D0+0], s[sgprPackKForV1] // select K=01 for vector=1
v_perm_b32 v[vgprPackTemp], v[vgprValuA_X0_I0_D3+0], v[vgprValuA_X0_I0_D2+0], s[sgprPackKForV1] // select K=23 for vector=1
_v_lshl_or_b32 v[vgprValuA_X0_I0+2], v[vgprPackTemp], 0x10, v[vgprValuA_X0_I0+2] // pack two half Vgpr to one Vgpr
v_perm_b32 v[vgprValuA_X0_I0+3], v[vgprValuA_X0_I0_D5+0], v[vgprValuA_X0_I0_D4+0], s[sgprPackKForV1] // select K=45 for vector=1
v_perm_b32 v[vgprPackTemp], v[vgprValuA_X0_I0_D7+0], v[vgprValuA_X0_I0_D6+0], s[sgprPackKForV1] // select K=67 for vector=1
_v_lshl_or_b32 v[vgprValuA_X0_I0+3], v[vgprPackTemp], 0x10, v[vgprValuA_X0_I0+3] // pack two half Vgpr to one Vgpr
v_mfma_f32_16x16x32_bf8_fp8 a[0+0:3+0], v[vgprValuB_X0_I0+0+0+0:vgprValuB_X0_I0+0+0+0+1], v[vgprValuA_X0_I0+0+0+0:vgprValuA_X0_I0+0+0+0+1], a[0:3]
/*  mfmaIndex:1  */
_ds_load_b64 v[vgprValuA_X1_I0_D0+0:vgprValuA_X1_I0_D0+0+1], v[vgprLocalReadAddrA] offset:8192 // L -> Reg lro=8192 swapByteOffset=0 ti=256 vIdx=0 rIdx=0 oIdx=0 buffer=1 iui=0

/* global read inc A loopL */
s_add_u32 s[sgprSrdA+0], s[sgprSrdA+0], s[sgprGlobalReadIncsA+0] // gra SRD += inc(lower)
/* pack scheduling: packAIdx:12, packBIdx:6 */
v_perm_b32 v[vgprValuA_X0_I0+4], v[vgprValuA_X0_I0_D1+0], v[vgprValuA_X0_I0_D0+0], s[sgprPackKForV2] // select K=01 for vector=2
v_perm_b32 v[vgprPackTemp], v[vgprValuA_X0_I0_D3+0], v[vgprValuA_X0_I0_D2+0], s[sgprPackKForV2] // select K=23 for vector=2
_v_lshl_or_b32 v[vgprValuA_X0_I0+4], v[vgprPackTemp], 0x10, v[vgprValuA_X0_I0+4] // pack two half Vgpr to one Vgpr
v_perm_b32 v[vgprValuA_X0_I0+5], v[vgprValuA_X0_I0_D5+0], v[vgprValuA_X0_I0_D4+0], s[sgprPackKForV2] // select K=45 for vector=2
v_perm_b32 v[vgprPackTemp], v[vgprValuA_X0_I0_D7+0], v[vgprValuA_X0_I0_D6+0], s[sgprPackKForV2] // select K=67 for vector=2
_v_lshl_or_b32 v[vgprValuA_X0_I0+5], v[vgprPackTemp], 0x10, v[vgprValuA_X0_I0+5] // pack two half Vgpr to one Vgpr
v_mfma_f32_16x16x32_bf8_fp8 a[4+0:7+0], v[vgprValuB_X0_I0+0+0+0:vgprValuB_X0_I0+0+0+0+1], v[vgprValuA_X0_I0+2+0+0:vgprValuA_X0_I0+2+0+0+1], a[4:7]
/*  mfmaIndex:2  */
_ds_load_b64 v[vgprValuA_X1_I0_D1+0:vgprValuA_X1_I0_D1+0+1], v[vgprLocalReadAddrA] offset:8448 // L -> Reg lro=8192 swapByteOffset=0 ti=256 vIdx=0 rIdx=1 oIdx=0 buffer=1 iui=0
s_addc_u32  s[sgprSrdA+1], s[sgprSrdA+1], 0        // gra SRD += inc(upper)
/* pack scheduling: packAIdx:18, packBIdx:6 */
v_perm_b32 v[vgprValuA_X0_I0+6], v[vgprValuA_X0_I0_D1+0], v[vgprValuA_X0_I0_D0+0], s[sgprPackKForV3] // select K=01 for vector=3
v_perm_b32 v[vgprPackTemp], v[vgprValuA_X0_I0_D3+0], v[vgprValuA_X0_I0_D2+0], s[sgprPackKForV3] // select K=23 for vector=3
_v_lshl_or_b32 v[vgprValuA_X0_I0+6], v[vgprPackTemp], 0x10, v[vgprValuA_X0_I0+6] // pack two half Vgpr to one Vgpr
v_perm_b32 v[vgprValuA_X0_I0+7], v[vgprValuA_X0_I0_D5+0], v[vgprValuA_X0_I0_D4+0], s[sgprPackKForV3] // select K=45 for vector=3
v_perm_b32 v[vgprPackTemp], v[vgprValuA_X0_I0_D7+0], v[vgprValuA_X0_I0_D6+0], s[sgprPackKForV3] // select K=67 for vector=3
_v_lshl_or_b32 v[vgprValuA_X0_I0+7], v[vgprPackTemp], 0x10, v[vgprValuA_X0_I0+7] // pack two half Vgpr to one Vgpr
v_mfma_f32_16x16x32_bf8_fp8 a[8+0:11+0], v[vgprValuB_X0_I0+0+0+0:vgprValuB_X0_I0+0+0+0+1], v[vgprValuA_X0_I0+4+0+0:vgprValuA_X0_I0+4+0+0+1], a[8:11]
/*  mfmaIndex:3  */
_ds_load_b64 v[vgprValuA_X1_I0_D2+0:vgprValuA_X1_I0_D2+0+1], v[vgprLocalReadAddrA] offset:8704 // L -> Reg lro=8192 swapByteOffset=0 ti=256 vIdx=0 rIdx=2 oIdx=0 buffer=1 iui=0
s_sub_u32 s[sgprShadowLimitA+0], s[sgprShadowLimitA+0], s[sgprGlobalReadIncsA+0] // limit -= inc)
/* pack scheduling: packAIdx:24, packBIdx:6 */
v_perm_b32 v[vgprValuA_X0_I0+8], v[vgprValuA_X0_I0_D1+1], v[vgprValuA_X0_I0_D0+1], s[sgprPackKForV0] // select K=01 for vector=0
v_perm_b32 v[vgprPackTemp], v[vgprValuA_X0_I0_D3+1], v[vgprValuA_X0_I0_D2+1], s[sgprPackKForV0] // select K=23 for vector=0
_v_lshl_or_b32 v[vgprValuA_X0_I0+8], v[vgprPackTemp], 0x10, v[vgprValuA_X0_I0+8] // pack two half Vgpr to one Vgpr
v_perm_b32 v[vgprValuA_X0_I0+9], v[vgprValuA_X0_I0_D5+1], v[vgprValuA_X0_I0_D4+1], s[sgprPackKForV0] // select K=45 for vector=0
v_perm_b32 v[vgprPackTemp], v[vgprValuA_X0_I0_D7+1], v[vgprValuA_X0_I0_D6+1], s[sgprPackKForV0] // select K=67 for vector=0
_v_lshl_or_b32 v[vgprValuA_X0_I0+9], v[vgprPackTemp], 0x10, v[vgprValuA_X0_I0+9] // pack two half Vgpr to one Vgpr
v_mfma_f32_16x16x32_bf8_fp8 a[12+0:15+0], v[vgprValuB_X0_I0+0+0+0:vgprValuB_X0_I0+0+0+0+1], v[vgprValuA_X0_I0+6+0+0:vgprValuA_X0_I0+6+0+0+1], a[12:15]
/*  mfmaIndex:4  */
_ds_load_b64 v[vgprValuA_X1_I0_D3+0:vgprValuA_X1_I0_D3+0+1], v[vgprLocalReadAddrA] offset:8960 // L -> Reg lro=8192 swapByteOffset=0 ti=256 vIdx=0 rIdx=3 oIdx=0 buffer=1 iui=0
s_subb_u32 s[sgprShadowLimitA+1], s[sgprShadowLimitA+1], 0 // limit -= inc)
/* pack scheduling: packAIdx:30, packBIdx:6 */
v_perm_b32 v[vgprValuA_X0_I0+10], v[vgprValuA_X0_I0_D1+1], v[vgprValuA_X0_I0_D0+1], s[sgprPackKForV1] // select K=01 for vector=1
v_perm_b32 v[vgprPackTemp], v[vgprValuA_X0_I0_D3+1], v[vgprValuA_X0_I0_D2+1], s[sgprPackKForV1] // select K=23 for vector=1
_v_lshl_or_b32 v[vgprValuA_X0_I0+10], v[vgprPackTemp], 0x10, v[vgprValuA_X0_I0+10] // pack two half Vgpr to one Vgpr
v_perm_b32 v[vgprValuA_X0_I0+11], v[vgprValuA_X0_I0_D5+1], v[vgprValuA_X0_I0_D4+1], s[sgprPackKForV1] // select K=45 for vector=1
v_perm_b32 v[vgprPackTemp], v[vgprValuA_X0_I0_D7+1], v[vgprValuA_X0_I0_D6+1], s[sgprPackKForV1] // select K=67 for vector=1
_v_lshl_or_b32 v[vgprValuA_X0_I0+11], v[vgprPackTemp], 0x10, v[vgprValuA_X0_I0+11] // pack two half Vgpr to one Vgpr
v_mfma_f32_16x16x32_bf8_fp8 a[16+0:19+0], v[vgprValuB_X0_I0+0+0+0:vgprValuB_X0_I0+0+0+0+1], v[vgprValuA_X0_I0+8+0+0:vgprValuA_X0_I0+8+0+0+1], a[16:19]
/*  mfmaIndex:5  */
_ds_load_b64 v[vgprValuA_X1_I0_D4+0:vgprValuA_X1_I0_D4+0+1], v[vgprLocalReadAddrA] offset:9216 // L -> Reg lro=8192 swapByteOffset=0 ti=256 vIdx=0 rIdx=4 oIdx=0 buffer=1 iui=0
s_cmp_eq_u32 s[sgprShadowLimitA+1], 0              // are we within 2^32?
/* pack scheduling: packAIdx:36, packBIdx:6 */
v_perm_b32 v[vgprValuA_X0_I0+12], v[vgprValuA_X0_I0_D1+1], v[vgprValuA_X0_I0_D0+1], s[sgprPackKForV2] // select K=01 for vector=2
v_perm_b32 v[vgprPackTemp], v[vgprValuA_X0_I0_D3+1], v[vgprValuA_X0_I0_D2+1], s[sgprPackKForV2] // select K=23 for vector=2
_v_lshl_or_b32 v[vgprValuA_X0_I0+12], v[vgprPackTemp], 0x10, v[vgprValuA_X0_I0+12] // pack two half Vgpr to one Vgpr
v_perm_b32 v[vgprValuA_X0_I0+13], v[vgprValuA_X0_I0_D5+1], v[vgprValuA_X0_I0_D4+1], s[sgprPackKForV2] // select K=45 for vector=2
v_perm_b32 v[vgprPackTemp], v[vgprValuA_X0_I0_D7+1], v[vgprValuA_X0_I0_D6+1], s[sgprPackKForV2] // select K=67 for vector=2
_v_lshl_or_b32 v[vgprValuA_X0_I0+13], v[vgprPackTemp], 0x10, v[vgprValuA_X0_I0+13] // pack two half Vgpr to one Vgpr
v_mfma_f32_16x16x32_bf8_fp8 a[20+0:23+0], v[vgprValuB_X0_I0+0+0+0:vgprValuB_X0_I0+0+0+0+1], v[vgprValuA_X0_I0+10+0+0:vgprValuA_X0_I0+10+0+0+1], a[20:23]
/*  mfmaIndex:6  */
_ds_load_b64 v[vgprValuA_X1_I0_D5+0:vgprValuA_X1_I0_D5+0+1], v[vgprLocalReadAddrA] offset:9472 // L -> Reg lro=8192 swapByteOffset=0 ti=256 vIdx=0 rIdx=5 oIdx=0 buffer=1 iui=0
s_cmov_b32 s[sgprSrdA+2], s[sgprShadowLimitA+0]    // Move shadow to real if we are within 2^32
/* pack scheduling: packAIdx:42, packBIdx:6 */
v_perm_b32 v[vgprValuA_X0_I0+14], v[vgprValuA_X0_I0_D1+1], v[vgprValuA_X0_I0_D0+1], s[sgprPackKForV3] // select K=01 for vector=3
v_perm_b32 v[vgprPackTemp], v[vgprValuA_X0_I0_D3+1], v[vgprValuA_X0_I0_D2+1], s[sgprPackKForV3] // select K=23 for vector=3
_v_lshl_or_b32 v[vgprValuA_X0_I0+14], v[vgprPackTemp], 0x10, v[vgprValuA_X0_I0+14] // pack two half Vgpr to one Vgpr
v_perm_b32 v[vgprValuA_X0_I0+15], v[vgprValuA_X0_I0_D5+1], v[vgprValuA_X0_I0_D4+1], s[sgprPackKForV3] // select K=45 for vector=3
v_perm_b32 v[vgprPackTemp], v[vgprValuA_X0_I0_D7+1], v[vgprValuA_X0_I0_D6+1], s[sgprPackKForV3] // select K=67 for vector=3
_v_lshl_or_b32 v[vgprValuA_X0_I0+15], v[vgprPackTemp], 0x10, v[vgprValuA_X0_I0+15] // pack two half Vgpr to one Vgpr
v_mfma_f32_16x16x32_bf8_fp8 a[24+0:27+0], v[vgprValuB_X0_I0+0+0+0:vgprValuB_X0_I0+0+0+0+1], v[vgprValuA_X0_I0+12+0+0:vgprValuA_X0_I0+12+0+0+1], a[24:27]
/*  mfmaIndex:7  */
_ds_load_b64 v[vgprValuA_X1_I0_D6+0:vgprValuA_X1_I0_D6+0+1], v[vgprLocalReadAddrA] offset:9728 // L -> Reg lro=8192 swapByteOffset=0 ti=256 vIdx=0 rIdx=6 oIdx=0 buffer=1 iui=0

/* global read inc B loopL */
s_add_u32 s[sgprSrdB+0], s[sgprSrdB+0], s[sgprGlobalReadIncsB+0] // gra SRD += inc(lower)
/* pack scheduling: packAIdx:48, packBIdx:6 */
v_perm_b32 v[vgprValuB_X0_I0+2], v[vgprValuB_X0_I0_D1+0], v[vgprValuB_X0_I0_D0+0], s[sgprPackKForV1] // select K=01 for vector=1
v_perm_b32 v[vgprPackTemp], v[vgprValuB_X0_I0_D3+0], v[vgprValuB_X0_I0_D2+0], s[sgprPackKForV1] // select K=23 for vector=1
_v_lshl_or_b32 v[vgprValuB_X0_I0+2], v[vgprPackTemp], 0x10, v[vgprValuB_X0_I0+2] // pack two half Vgpr to one Vgpr
v_perm_b32 v[vgprValuB_X0_I0+3], v[vgprValuB_X0_I0_D5+0], v[vgprValuB_X0_I0_D4+0], s[sgprPackKForV1] // select K=45 for vector=1
v_perm_b32 v[vgprPackTemp], v[vgprValuB_X0_I0_D7+0], v[vgprValuB_X0_I0_D6+0], s[sgprPackKForV1] // select K=67 for vector=1
_v_lshl_or_b32 v[vgprValuB_X0_I0+3], v[vgprPackTemp], 0x10, v[vgprValuB_X0_I0+3] // pack two half Vgpr to one Vgpr
v_mfma_f32_16x16x32_bf8_fp8 a[28+0:31+0], v[vgprValuB_X0_I0+0+0+0:vgprValuB_X0_I0+0+0+0+1], v[vgprValuA_X0_I0+14+0+0:vgprValuA_X0_I0+14+0+0+1], a[28:31]
/*  mfmaIndex:8  */
_ds_load_b64 v[vgprValuA_X1_I0_D7+0:vgprValuA_X1_I0_D7+0+1], v[vgprLocalReadAddrA] offset:9984 // L -> Reg lro=8192 swapByteOffset=0 ti=256 vIdx=0 rIdx=7 oIdx=0 buffer=1 iui=0
s_addc_u32  s[sgprSrdB+1], s[sgprSrdB+1], 0        // gra SRD += inc(upper)
/* pack scheduling: packAIdx:48, packBIdx:12 */
v_perm_b32 v[vgprValuB_X0_I0+4], v[vgprValuB_X0_I0_D1+0], v[vgprValuB_X0_I0_D0+0], s[sgprPackKForV2] // select K=01 for vector=2
v_perm_b32 v[vgprPackTemp], v[vgprValuB_X0_I0_D3+0], v[vgprValuB_X0_I0_D2+0], s[sgprPackKForV2] // select K=23 for vector=2
_v_lshl_or_b32 v[vgprValuB_X0_I0+4], v[vgprPackTemp], 0x10, v[vgprValuB_X0_I0+4] // pack two half Vgpr to one Vgpr
v_perm_b32 v[vgprValuB_X0_I0+5], v[vgprValuB_X0_I0_D5+0], v[vgprValuB_X0_I0_D4+0], s[sgprPackKForV2] // select K=45 for vector=2
v_perm_b32 v[vgprPackTemp], v[vgprValuB_X0_I0_D7+0], v[vgprValuB_X0_I0_D6+0], s[sgprPackKForV2] // select K=67 for vector=2
_v_lshl_or_b32 v[vgprValuB_X0_I0+5], v[vgprPackTemp], 0x10, v[vgprValuB_X0_I0+5] // pack two half Vgpr to one Vgpr
v_mfma_f32_16x16x32_bf8_fp8 a[60+0:63+0], v[vgprValuB_X0_I0+2+0+0:vgprValuB_X0_I0+2+0+0+1], v[vgprValuA_X0_I0+14+0+0:vgprValuA_X0_I0+14+0+0+1], a[60:63]
/*  mfmaIndex:9  */
_ds_load_b64 v[vgprValuB_X1_I0_D0+0:vgprValuB_X1_I0_D0+0+1], v[vgprLocalReadAddrB] offset:8192 // L -> Reg lro=8192 swapByteOffset=0 ti=256 vIdx=0 rIdx=0 oIdx=0 buffer=1 iui=0
s_sub_u32 s[sgprShadowLimitB+0], s[sgprShadowLimitB+0], s[sgprGlobalReadIncsB+0] // limit -= inc)
/* pack scheduling: packAIdx:48, packBIdx:12 */
v_perm_b32 v[vgprValuB_X0_I0+6], v[vgprValuB_X0_I0_D1+0], v[vgprValuB_X0_I0_D0+0], s[sgprPackKForV3] // select K=01 for vector=3
v_perm_b32 v[vgprPackTemp], v[vgprValuB_X0_I0_D3+0], v[vgprValuB_X0_I0_D2+0], s[sgprPackKForV3] // select K=23 for vector=3
_v_lshl_or_b32 v[vgprValuB_X0_I0+6], v[vgprPackTemp], 0x10, v[vgprValuB_X0_I0+6] // pack two half Vgpr to one Vgpr
v_perm_b32 v[vgprValuB_X0_I0+7], v[vgprValuB_X0_I0_D5+0], v[vgprValuB_X0_I0_D4+0], s[sgprPackKForV3] // select K=45 for vector=3
v_perm_b32 v[vgprPackTemp], v[vgprValuB_X0_I0_D7+0], v[vgprValuB_X0_I0_D6+0], s[sgprPackKForV3] // select K=67 for vector=3
_v_lshl_or_b32 v[vgprValuB_X0_I0+7], v[vgprPackTemp], 0x10, v[vgprValuB_X0_I0+7] // pack two half Vgpr to one Vgpr
v_mfma_f32_16x16x32_bf8_fp8 a[56+0:59+0], v[vgprValuB_X0_I0+2+0+0:vgprValuB_X0_I0+2+0+0+1], v[vgprValuA_X0_I0+12+0+0:vgprValuA_X0_I0+12+0+0+1], a[56:59]
/*  mfmaIndex:10  */
_ds_load_b64 v[vgprValuB_X1_I0_D1+0:vgprValuB_X1_I0_D1+0+1], v[vgprLocalReadAddrB] offset:8448 // L -> Reg lro=8192 swapByteOffset=0 ti=256 vIdx=0 rIdx=1 oIdx=0 buffer=1 iui=0
s_subb_u32 s[sgprShadowLimitB+1], s[sgprShadowLimitB+1], 0 // limit -= inc)
/* pack scheduling: packAIdx:48, packBIdx:12 */
v_perm_b32 v[vgprValuB_X0_I0+8], v[vgprValuB_X0_I0_D1+1], v[vgprValuB_X0_I0_D0+1], s[sgprPackKForV0] // select K=01 for vector=0
v_perm_b32 v[vgprPackTemp], v[vgprValuB_X0_I0_D3+1], v[vgprValuB_X0_I0_D2+1], s[sgprPackKForV0] // select K=23 for vector=0
_v_lshl_or_b32 v[vgprValuB_X0_I0+8], v[vgprPackTemp], 0x10, v[vgprValuB_X0_I0+8] // pack two half Vgpr to one Vgpr
v_perm_b32 v[vgprValuB_X0_I0+9], v[vgprValuB_X0_I0_D5+1], v[vgprValuB_X0_I0_D4+1], s[sgprPackKForV0] // select K=45 for vector=0
v_perm_b32 v[vgprPackTemp], v[vgprValuB_X0_I0_D7+1], v[vgprValuB_X0_I0_D6+1], s[sgprPackKForV0] // select K=67 for vector=0
_v_lshl_or_b32 v[vgprValuB_X0_I0+9], v[vgprPackTemp], 0x10, v[vgprValuB_X0_I0+9] // pack two half Vgpr to one Vgpr
v_mfma_f32_16x16x32_bf8_fp8 a[52+0:55+0], v[vgprValuB_X0_I0+2+0+0:vgprValuB_X0_I0+2+0+0+1], v[vgprValuA_X0_I0+10+0+0:vgprValuA_X0_I0+10+0+0+1], a[52:55]
/*  mfmaIndex:11  */
_ds_load_b64 v[vgprValuB_X1_I0_D2+0:vgprValuB_X1_I0_D2+0+1], v[vgprLocalReadAddrB] offset:8704 // L -> Reg lro=8192 swapByteOffset=0 ti=256 vIdx=0 rIdx=2 oIdx=0 buffer=1 iui=0
s_cmp_eq_u32 s[sgprShadowLimitB+1], 0              // are we within 2^32?
/* pack scheduling: packAIdx:48, packBIdx:12 */
v_perm_b32 v[vgprValuB_X0_I0+10], v[vgprValuB_X0_I0_D1+1], v[vgprValuB_X0_I0_D0+1], s[sgprPackKForV1] // select K=01 for vector=1
v_perm_b32 v[vgprPackTemp], v[vgprValuB_X0_I0_D3+1], v[vgprValuB_X0_I0_D2+1], s[sgprPackKForV1] // select K=23 for vector=1
_v_lshl_or_b32 v[vgprValuB_X0_I0+10], v[vgprPackTemp], 0x10, v[vgprValuB_X0_I0+10] // pack two half Vgpr to one Vgpr
v_perm_b32 v[vgprValuB_X0_I0+11], v[vgprValuB_X0_I0_D5+1], v[vgprValuB_X0_I0_D4+1], s[sgprPackKForV1] // select K=45 for vector=1
v_perm_b32 v[vgprPackTemp], v[vgprValuB_X0_I0_D7+1], v[vgprValuB_X0_I0_D6+1], s[sgprPackKForV1] // select K=67 for vector=1
_v_lshl_or_b32 v[vgprValuB_X0_I0+11], v[vgprPackTemp], 0x10, v[vgprValuB_X0_I0+11] // pack two half Vgpr to one Vgpr
v_mfma_f32_16x16x32_bf8_fp8 a[48+0:51+0], v[vgprValuB_X0_I0+2+0+0:vgprValuB_X0_I0+2+0+0+1], v[vgprValuA_X0_I0+8+0+0:vgprValuA_X0_I0+8+0+0+1], a[48:51]
/*  mfmaIndex:12  */
_ds_load_b64 v[vgprValuB_X1_I0_D3+0:vgprValuB_X1_I0_D3+0+1], v[vgprLocalReadAddrB] offset:8960 // L -> Reg lro=8192 swapByteOffset=0 ti=256 vIdx=0 rIdx=3 oIdx=0 buffer=1 iui=0
s_cmov_b32 s[sgprSrdB+2], s[sgprShadowLimitB+0]    // Move shadow to real if we are within 2^32
/* pack scheduling: packAIdx:48, packBIdx:12 */
v_perm_b32 v[vgprValuB_X0_I0+12], v[vgprValuB_X0_I0_D1+1], v[vgprValuB_X0_I0_D0+1], s[sgprPackKForV2] // select K=01 for vector=2
v_perm_b32 v[vgprPackTemp], v[vgprValuB_X0_I0_D3+1], v[vgprValuB_X0_I0_D2+1], s[sgprPackKForV2] // select K=23 for vector=2
_v_lshl_or_b32 v[vgprValuB_X0_I0+12], v[vgprPackTemp], 0x10, v[vgprValuB_X0_I0+12] // pack two half Vgpr to one Vgpr
v_perm_b32 v[vgprValuB_X0_I0+13], v[vgprValuB_X0_I0_D5+1], v[vgprValuB_X0_I0_D4+1], s[sgprPackKForV2] // select K=45 for vector=2
v_perm_b32 v[vgprPackTemp], v[vgprValuB_X0_I0_D7+1], v[vgprValuB_X0_I0_D6+1], s[sgprPackKForV2] // select K=67 for vector=2
_v_lshl_or_b32 v[vgprValuB_X0_I0+13], v[vgprPackTemp], 0x10, v[vgprValuB_X0_I0+13] // pack two half Vgpr to one Vgpr
v_mfma_f32_16x16x32_bf8_fp8 a[44+0:47+0], v[vgprValuB_X0_I0+2+0+0:vgprValuB_X0_I0+2+0+0+1], v[vgprValuA_X0_I0+6+0+0:vgprValuA_X0_I0+6+0+0+1], a[44:47]
/*  mfmaIndex:13  */
_ds_load_b64 v[vgprValuB_X1_I0_D4+0:vgprValuB_X1_I0_D4+0+1], v[vgprLocalReadAddrB] offset:9216 // L -> Reg lro=8192 swapByteOffset=0 ti=256 vIdx=0 rIdx=4 oIdx=0 buffer=1 iui=0
/* pack scheduling: packAIdx:48, packBIdx:12 */
v_perm_b32 v[vgprValuB_X0_I0+14], v[vgprValuB_X0_I0_D1+1], v[vgprValuB_X0_I0_D0+1], s[sgprPackKForV3] // select K=01 for vector=3
v_perm_b32 v[vgprPackTemp], v[vgprValuB_X0_I0_D3+1], v[vgprValuB_X0_I0_D2+1], s[sgprPackKForV3] // select K=23 for vector=3
_v_lshl_or_b32 v[vgprValuB_X0_I0+14], v[vgprPackTemp], 0x10, v[vgprValuB_X0_I0+14] // pack two half Vgpr to one Vgpr
v_perm_b32 v[vgprValuB_X0_I0+15], v[vgprValuB_X0_I0_D5+1], v[vgprValuB_X0_I0_D4+1], s[sgprPackKForV3] // select K=45 for vector=3
v_perm_b32 v[vgprPackTemp], v[vgprValuB_X0_I0_D7+1], v[vgprValuB_X0_I0_D6+1], s[sgprPackKForV3] // select K=67 for vector=3
_v_lshl_or_b32 v[vgprValuB_X0_I0+15], v[vgprPackTemp], 0x10, v[vgprValuB_X0_I0+15] // pack two half Vgpr to one Vgpr
v_mfma_f32_16x16x32_bf8_fp8 a[40+0:43+0], v[vgprValuB_X0_I0+2+0+0:vgprValuB_X0_I0+2+0+0+1], v[vgprValuA_X0_I0+4+0+0:vgprValuA_X0_I0+4+0+0+1], a[40:43]
/*  mfmaIndex:14  */
_ds_load_b64 v[vgprValuB_X1_I0_D5+0:vgprValuB_X1_I0_D5+0+1], v[vgprLocalReadAddrB] offset:9472 // L -> Reg lro=8192 swapByteOffset=0 ti=256 vIdx=0 rIdx=5 oIdx=0 buffer=1 iui=0
v_mfma_f32_16x16x32_bf8_fp8 a[36+0:39+0], v[vgprValuB_X0_I0+2+0+0:vgprValuB_X0_I0+2+0+0+1], v[vgprValuA_X0_I0+2+0+0:vgprValuA_X0_I0+2+0+0+1], a[36:39]
/*  mfmaIndex:15  */
_ds_load_b64 v[vgprValuB_X1_I0_D6+0:vgprValuB_X1_I0_D6+0+1], v[vgprLocalReadAddrB] offset:9728 // L -> Reg lro=8192 swapByteOffset=0 ti=256 vIdx=0 rIdx=6 oIdx=0 buffer=1 iui=0
v_mfma_f32_16x16x32_bf8_fp8 a[32+0:35+0], v[vgprValuB_X0_I0+2+0+0:vgprValuB_X0_I0+2+0+0+1], v[vgprValuA_X0_I0+0+0+0:vgprValuA_X0_I0+0+0+0+1], a[32:35]
/*  mfmaIndex:16  */
_ds_load_b64 v[vgprValuB_X1_I0_D7+0:vgprValuB_X1_I0_D7+0+1], v[vgprLocalReadAddrB] offset:9984 // L -> Reg lro=8192 swapByteOffset=0 ti=256 vIdx=0 rIdx=7 oIdx=0 buffer=1 iui=0
v_mfma_f32_16x16x32_bf8_fp8 a[64+0:67+0], v[vgprValuB_X0_I0+4+0+0:vgprValuB_X0_I0+4+0+0+1], v[vgprValuA_X0_I0+0+0+0:vgprValuA_X0_I0+0+0+0+1], a[64:67]
/*  mfmaIndex:17  */
/* localReadsVacancy: latencyLeft 2 */
_ds_load_b64 v[vgprValuA_X2_I0_D0+0:vgprValuA_X2_I0_D0+0+1], v[vgprLocalReadAddrA] offset:16384 // L -> Reg lro=16384 swapByteOffset=0 ti=256 vIdx=0 rIdx=0 oIdx=0 buffer=2 iui=0
v_mfma_f32_16x16x32_bf8_fp8 a[68+0:71+0], v[vgprValuB_X0_I0+4+0+0:vgprValuB_X0_I0+4+0+0+1], v[vgprValuA_X0_I0+2+0+0:vgprValuA_X0_I0+2+0+0+1], a[68:71]
/*  mfmaIndex:18  */
/* localReadsVacancy: latencyLeft 2 */
_ds_load_b64 v[vgprValuA_X2_I0_D1+0:vgprValuA_X2_I0_D1+0+1], v[vgprLocalReadAddrA] offset:16640 // L -> Reg lro=16384 swapByteOffset=0 ti=256 vIdx=0 rIdx=1 oIdx=0 buffer=2 iui=0
v_mfma_f32_16x16x32_bf8_fp8 a[72+0:75+0], v[vgprValuB_X0_I0+4+0+0:vgprValuB_X0_I0+4+0+0+1], v[vgprValuA_X0_I0+4+0+0:vgprValuA_X0_I0+4+0+0+1], a[72:75]
/*  mfmaIndex:19  */
/* localReadsVacancy: latencyLeft 2 */
_ds_load_b64 v[vgprValuA_X2_I0_D2+0:vgprValuA_X2_I0_D2+0+1], v[vgprLocalReadAddrA] offset:16896 // L -> Reg lro=16384 swapByteOffset=0 ti=256 vIdx=0 rIdx=2 oIdx=0 buffer=2 iui=0
v_mfma_f32_16x16x32_bf8_fp8 a[76+0:79+0], v[vgprValuB_X0_I0+4+0+0:vgprValuB_X0_I0+4+0+0+1], v[vgprValuA_X0_I0+6+0+0:vgprValuA_X0_I0+6+0+0+1], a[76:79]
/*  mfmaIndex:20  */
/* localReadsVacancy: latencyLeft 2 */
_ds_load_b64 v[vgprValuA_X2_I0_D3+0:vgprValuA_X2_I0_D3+0+1], v[vgprLocalReadAddrA] offset:17152 // L -> Reg lro=16384 swapByteOffset=0 ti=256 vIdx=0 rIdx=3 oIdx=0 buffer=2 iui=0
v_mfma_f32_16x16x32_bf8_fp8 a[80+0:83+0], v[vgprValuB_X0_I0+4+0+0:vgprValuB_X0_I0+4+0+0+1], v[vgprValuA_X0_I0+8+0+0:vgprValuA_X0_I0+8+0+0+1], a[80:83]
/*  mfmaIndex:21  */
/* localReadsVacancy: latencyLeft 2 */
_ds_load_b64 v[vgprValuA_X2_I0_D4+0:vgprValuA_X2_I0_D4+0+1], v[vgprLocalReadAddrA] offset:17408 // L -> Reg lro=16384 swapByteOffset=0 ti=256 vIdx=0 rIdx=4 oIdx=0 buffer=2 iui=0
v_mfma_f32_16x16x32_bf8_fp8 a[84+0:87+0], v[vgprValuB_X0_I0+4+0+0:vgprValuB_X0_I0+4+0+0+1], v[vgprValuA_X0_I0+10+0+0:vgprValuA_X0_I0+10+0+0+1], a[84:87]
/*  mfmaIndex:22  */
/* localReadsVacancy: latencyLeft 2 */
_ds_load_b64 v[vgprValuA_X2_I0_D5+0:vgprValuA_X2_I0_D5+0+1], v[vgprLocalReadAddrA] offset:17664 // L -> Reg lro=16384 swapByteOffset=0 ti=256 vIdx=0 rIdx=5 oIdx=0 buffer=2 iui=0
v_mfma_f32_16x16x32_bf8_fp8 a[88+0:91+0], v[vgprValuB_X0_I0+4+0+0:vgprValuB_X0_I0+4+0+0+1], v[vgprValuA_X0_I0+12+0+0:vgprValuA_X0_I0+12+0+0+1], a[88:91]
/*  mfmaIndex:23  */
/* localReadsVacancy: latencyLeft 2 */
_ds_load_b64 v[vgprValuA_X2_I0_D6+0:vgprValuA_X2_I0_D6+0+1], v[vgprLocalReadAddrA] offset:17920 // L -> Reg lro=16384 swapByteOffset=0 ti=256 vIdx=0 rIdx=6 oIdx=0 buffer=2 iui=0
v_mfma_f32_16x16x32_bf8_fp8 a[92+0:95+0], v[vgprValuB_X0_I0+4+0+0:vgprValuB_X0_I0+4+0+0+1], v[vgprValuA_X0_I0+14+0+0:vgprValuA_X0_I0+14+0+0+1], a[92:95]
/*  mfmaIndex:24  */
/* localReadsVacancy: latencyLeft 2 */
_ds_load_b64 v[vgprValuA_X2_I0_D7+0:vgprValuA_X2_I0_D7+0+1], v[vgprLocalReadAddrA] offset:18176 // L -> Reg lro=16384 swapByteOffset=0 ti=256 vIdx=0 rIdx=7 oIdx=0 buffer=2 iui=0
v_mfma_f32_16x16x32_bf8_fp8 a[124+0:127+0], v[vgprValuB_X0_I0+6+0+0:vgprValuB_X0_I0+6+0+0+1], v[vgprValuA_X0_I0+14+0+0:vgprValuA_X0_I0+14+0+0+1], a[124:127]
/*  mfmaIndex:25  */
/* localReadsVacancy: latencyLeft 2 */
_ds_load_b64 v[vgprValuB_X2_I0_D0+0:vgprValuB_X2_I0_D0+0+1], v[vgprLocalReadAddrB] offset:16384 // L -> Reg lro=16384 swapByteOffset=0 ti=256 vIdx=0 rIdx=0 oIdx=0 buffer=2 iui=0
v_mfma_f32_16x16x32_bf8_fp8 a[120+0:123+0], v[vgprValuB_X0_I0+6+0+0:vgprValuB_X0_I0+6+0+0+1], v[vgprValuA_X0_I0+12+0+0:vgprValuA_X0_I0+12+0+0+1], a[120:123]
/*  mfmaIndex:26  */
/* localReadsVacancy: latencyLeft 2 */
_ds_load_b64 v[vgprValuB_X2_I0_D1+0:vgprValuB_X2_I0_D1+0+1], v[vgprLocalReadAddrB] offset:16640 // L -> Reg lro=16384 swapByteOffset=0 ti=256 vIdx=0 rIdx=1 oIdx=0 buffer=2 iui=0
v_mfma_f32_16x16x32_bf8_fp8 a[116+0:119+0], v[vgprValuB_X0_I0+6+0+0:vgprValuB_X0_I0+6+0+0+1], v[vgprValuA_X0_I0+10+0+0:vgprValuA_X0_I0+10+0+0+1], a[116:119]
/*  mfmaIndex:27  */
/* localReadsVacancy: latencyLeft 2 */
_ds_load_b64 v[vgprValuB_X2_I0_D2+0:vgprValuB_X2_I0_D2+0+1], v[vgprLocalReadAddrB] offset:16896 // L -> Reg lro=16384 swapByteOffset=0 ti=256 vIdx=0 rIdx=2 oIdx=0 buffer=2 iui=0
v_mfma_f32_16x16x32_bf8_fp8 a[112+0:115+0], v[vgprValuB_X0_I0+6+0+0:vgprValuB_X0_I0+6+0+0+1], v[vgprValuA_X0_I0+8+0+0:vgprValuA_X0_I0+8+0+0+1], a[112:115]
/*  mfmaIndex:28  */
/* localReadsVacancy: latencyLeft 2 */
_ds_load_b64 v[vgprValuB_X2_I0_D3+0:vgprValuB_X2_I0_D3+0+1], v[vgprLocalReadAddrB] offset:17152 // L -> Reg lro=16384 swapByteOffset=0 ti=256 vIdx=0 rIdx=3 oIdx=0 buffer=2 iui=0
v_mfma_f32_16x16x32_bf8_fp8 a[108+0:111+0], v[vgprValuB_X0_I0+6+0+0:vgprValuB_X0_I0+6+0+0+1], v[vgprValuA_X0_I0+6+0+0:vgprValuA_X0_I0+6+0+0+1], a[108:111]
/*  mfmaIndex:29  */
/* localReadsVacancy: latencyLeft 2 */
_ds_load_b64 v[vgprValuB_X2_I0_D4+0:vgprValuB_X2_I0_D4+0+1], v[vgprLocalReadAddrB] offset:17408 // L -> Reg lro=16384 swapByteOffset=0 ti=256 vIdx=0 rIdx=4 oIdx=0 buffer=2 iui=0
v_mfma_f32_16x16x32_bf8_fp8 a[104+0:107+0], v[vgprValuB_X0_I0+6+0+0:vgprValuB_X0_I0+6+0+0+1], v[vgprValuA_X0_I0+4+0+0:vgprValuA_X0_I0+4+0+0+1], a[104:107]
/*  mfmaIndex:30  */
/* localReadsVacancy: latencyLeft 2 */
_ds_load_b64 v[vgprValuB_X2_I0_D5+0:vgprValuB_X2_I0_D5+0+1], v[vgprLocalReadAddrB] offset:17664 // L -> Reg lro=16384 swapByteOffset=0 ti=256 vIdx=0 rIdx=5 oIdx=0 buffer=2 iui=0
v_mfma_f32_16x16x32_bf8_fp8 a[100+0:103+0], v[vgprValuB_X0_I0+6+0+0:vgprValuB_X0_I0+6+0+0+1], v[vgprValuA_X0_I0+2+0+0:vgprValuA_X0_I0+2+0+0+1], a[100:103]
/*  mfmaIndex:31  */
/* localReadsVacancy: latencyLeft 2 */
_ds_load_b64 v[vgprValuB_X2_I0_D6+0:vgprValuB_X2_I0_D6+0+1], v[vgprLocalReadAddrB] offset:17920 // L -> Reg lro=16384 swapByteOffset=0 ti=256 vIdx=0 rIdx=6 oIdx=0 buffer=2 iui=0
v_mfma_f32_16x16x32_bf8_fp8 a[96+0:99+0], v[vgprValuB_X0_I0+6+0+0:vgprValuB_X0_I0+6+0+0+1], v[vgprValuA_X0_I0+0+0+0:vgprValuA_X0_I0+0+0+0+1], a[96:99]
/*  mfmaIndex:32  */
/* localReadsVacancy: latencyLeft 2 */
_ds_load_b64 v[vgprValuB_X2_I0_D7+0:vgprValuB_X2_I0_D7+0+1], v[vgprLocalReadAddrB] offset:18176 // L -> Reg lro=16384 swapByteOffset=0 ti=256 vIdx=0 rIdx=7 oIdx=0 buffer=2 iui=0
v_mfma_f32_16x16x32_bf8_fp8 a[128+0:131+0], v[vgprValuB_X0_I0+8+0+0:vgprValuB_X0_I0+8+0+0+1], v[vgprValuA_X0_I0+0+0+0:vgprValuA_X0_I0+0+0+0+1], a[128:131]
/*  mfmaIndex:33  */
/* localReadsVacancy: latencyLeft 2 */
_ds_load_b64 v[vgprValuA_X3_I0_D0+0:vgprValuA_X3_I0_D0+0+1], v[vgprLocalReadAddrA] offset:24576 // L -> Reg lro=24576 swapByteOffset=0 ti=256 vIdx=0 rIdx=0 oIdx=0 buffer=3 iui=0
v_mfma_f32_16x16x32_bf8_fp8 a[132+0:135+0], v[vgprValuB_X0_I0+8+0+0:vgprValuB_X0_I0+8+0+0+1], v[vgprValuA_X0_I0+2+0+0:vgprValuA_X0_I0+2+0+0+1], a[132:135]
/*  mfmaIndex:34  */
/* localReadsVacancy: latencyLeft 2 */
_ds_load_b64 v[vgprValuA_X3_I0_D1+0:vgprValuA_X3_I0_D1+0+1], v[vgprLocalReadAddrA] offset:24832 // L -> Reg lro=24576 swapByteOffset=0 ti=256 vIdx=0 rIdx=1 oIdx=0 buffer=3 iui=0
v_mfma_f32_16x16x32_bf8_fp8 a[136+0:139+0], v[vgprValuB_X0_I0+8+0+0:vgprValuB_X0_I0+8+0+0+1], v[vgprValuA_X0_I0+4+0+0:vgprValuA_X0_I0+4+0+0+1], a[136:139]
/*  mfmaIndex:35  */
/* localReadsVacancy: latencyLeft 2 */
_ds_load_b64 v[vgprValuA_X3_I0_D2+0:vgprValuA_X3_I0_D2+0+1], v[vgprLocalReadAddrA] offset:25088 // L -> Reg lro=24576 swapByteOffset=0 ti=256 vIdx=0 rIdx=2 oIdx=0 buffer=3 iui=0
v_mfma_f32_16x16x32_bf8_fp8 a[140+0:143+0], v[vgprValuB_X0_I0+8+0+0:vgprValuB_X0_I0+8+0+0+1], v[vgprValuA_X0_I0+6+0+0:vgprValuA_X0_I0+6+0+0+1], a[140:143]
/*  mfmaIndex:36  */
/* localReadsVacancy: latencyLeft 2 */
_ds_load_b64 v[vgprValuA_X3_I0_D3+0:vgprValuA_X3_I0_D3+0+1], v[vgprLocalReadAddrA] offset:25344 // L -> Reg lro=24576 swapByteOffset=0 ti=256 vIdx=0 rIdx=3 oIdx=0 buffer=3 iui=0
v_mfma_f32_16x16x32_bf8_fp8 a[144+0:147+0], v[vgprValuB_X0_I0+8+0+0:vgprValuB_X0_I0+8+0+0+1], v[vgprValuA_X0_I0+8+0+0:vgprValuA_X0_I0+8+0+0+1], a[144:147]
/*  mfmaIndex:37  */
/* localReadsVacancy: latencyLeft 2 */
_ds_load_b64 v[vgprValuA_X3_I0_D4+0:vgprValuA_X3_I0_D4+0+1], v[vgprLocalReadAddrA] offset:25600 // L -> Reg lro=24576 swapByteOffset=0 ti=256 vIdx=0 rIdx=4 oIdx=0 buffer=3 iui=0
v_mfma_f32_16x16x32_bf8_fp8 a[148+0:151+0], v[vgprValuB_X0_I0+8+0+0:vgprValuB_X0_I0+8+0+0+1], v[vgprValuA_X0_I0+10+0+0:vgprValuA_X0_I0+10+0+0+1], a[148:151]
/*  mfmaIndex:38  */
/* localReadsVacancy: latencyLeft 2 */
_ds_load_b64 v[vgprValuA_X3_I0_D5+0:vgprValuA_X3_I0_D5+0+1], v[vgprLocalReadAddrA] offset:25856 // L -> Reg lro=24576 swapByteOffset=0 ti=256 vIdx=0 rIdx=5 oIdx=0 buffer=3 iui=0
v_mfma_f32_16x16x32_bf8_fp8 a[152+0:155+0], v[vgprValuB_X0_I0+8+0+0:vgprValuB_X0_I0+8+0+0+1], v[vgprValuA_X0_I0+12+0+0:vgprValuA_X0_I0+12+0+0+1], a[152:155]
/*  mfmaIndex:39  */
/* localReadsVacancy: latencyLeft 2 */
_ds_load_b64 v[vgprValuA_X3_I0_D6+0:vgprValuA_X3_I0_D6+0+1], v[vgprLocalReadAddrA] offset:26112 // L -> Reg lro=24576 swapByteOffset=0 ti=256 vIdx=0 rIdx=6 oIdx=0 buffer=3 iui=0
v_mfma_f32_16x16x32_bf8_fp8 a[156+0:159+0], v[vgprValuB_X0_I0+8+0+0:vgprValuB_X0_I0+8+0+0+1], v[vgprValuA_X0_I0+14+0+0:vgprValuA_X0_I0+14+0+0+1], a[156:159]
/*  mfmaIndex:40  */
/* localReadsVacancy: latencyLeft 2 */
_ds_load_b64 v[vgprValuA_X3_I0_D7+0:vgprValuA_X3_I0_D7+0+1], v[vgprLocalReadAddrA] offset:26368 // L -> Reg lro=24576 swapByteOffset=0 ti=256 vIdx=0 rIdx=7 oIdx=0 buffer=3 iui=0
v_mfma_f32_16x16x32_bf8_fp8 a[188+0:191+0], v[vgprValuB_X0_I0+10+0+0:vgprValuB_X0_I0+10+0+0+1], v[vgprValuA_X0_I0+14+0+0:vgprValuA_X0_I0+14+0+0+1], a[188:191]
/*  mfmaIndex:41  */
/* localReadsVacancy: latencyLeft 2 */
_ds_load_b64 v[vgprValuB_X3_I0_D0+0:vgprValuB_X3_I0_D0+0+1], v[vgprLocalReadAddrB] offset:24576 // L -> Reg lro=24576 swapByteOffset=0 ti=256 vIdx=0 rIdx=0 oIdx=0 buffer=3 iui=0
v_mfma_f32_16x16x32_bf8_fp8 a[184+0:187+0], v[vgprValuB_X0_I0+10+0+0:vgprValuB_X0_I0+10+0+0+1], v[vgprValuA_X0_I0+12+0+0:vgprValuA_X0_I0+12+0+0+1], a[184:187]
/*  mfmaIndex:42  */
/* localReadsVacancy: latencyLeft 2 */
_ds_load_b64 v[vgprValuB_X3_I0_D1+0:vgprValuB_X3_I0_D1+0+1], v[vgprLocalReadAddrB] offset:24832 // L -> Reg lro=24576 swapByteOffset=0 ti=256 vIdx=0 rIdx=1 oIdx=0 buffer=3 iui=0
v_mfma_f32_16x16x32_bf8_fp8 a[180+0:183+0], v[vgprValuB_X0_I0+10+0+0:vgprValuB_X0_I0+10+0+0+1], v[vgprValuA_X0_I0+10+0+0:vgprValuA_X0_I0+10+0+0+1], a[180:183]
/*  mfmaIndex:43  */
/* localReadsVacancy: latencyLeft 2 */
_ds_load_b64 v[vgprValuB_X3_I0_D2+0:vgprValuB_X3_I0_D2+0+1], v[vgprLocalReadAddrB] offset:25088 // L -> Reg lro=24576 swapByteOffset=0 ti=256 vIdx=0 rIdx=2 oIdx=0 buffer=3 iui=0
v_mfma_f32_16x16x32_bf8_fp8 a[176+0:179+0], v[vgprValuB_X0_I0+10+0+0:vgprValuB_X0_I0+10+0+0+1], v[vgprValuA_X0_I0+8+0+0:vgprValuA_X0_I0+8+0+0+1], a[176:179]
/*  mfmaIndex:44  */
/* localReadsVacancy: latencyLeft 2 */
_ds_load_b64 v[vgprValuB_X3_I0_D3+0:vgprValuB_X3_I0_D3+0+1], v[vgprLocalReadAddrB] offset:25344 // L -> Reg lro=24576 swapByteOffset=0 ti=256 vIdx=0 rIdx=3 oIdx=0 buffer=3 iui=0
v_mfma_f32_16x16x32_bf8_fp8 a[172+0:175+0], v[vgprValuB_X0_I0+10+0+0:vgprValuB_X0_I0+10+0+0+1], v[vgprValuA_X0_I0+6+0+0:vgprValuA_X0_I0+6+0+0+1], a[172:175]
/*  mfmaIndex:45  */
/* localReadsVacancy: latencyLeft 2 */
_ds_load_b64 v[vgprValuB_X3_I0_D4+0:vgprValuB_X3_I0_D4+0+1], v[vgprLocalReadAddrB] offset:25600 // L -> Reg lro=24576 swapByteOffset=0 ti=256 vIdx=0 rIdx=4 oIdx=0 buffer=3 iui=0
v_mfma_f32_16x16x32_bf8_fp8 a[168+0:171+0], v[vgprValuB_X0_I0+10+0+0:vgprValuB_X0_I0+10+0+0+1], v[vgprValuA_X0_I0+4+0+0:vgprValuA_X0_I0+4+0+0+1], a[168:171]
/*  mfmaIndex:46  */
/* localReadsVacancy: latencyLeft 2 */
_ds_load_b64 v[vgprValuB_X3_I0_D5+0:vgprValuB_X3_I0_D5+0+1], v[vgprLocalReadAddrB] offset:25856 // L -> Reg lro=24576 swapByteOffset=0 ti=256 vIdx=0 rIdx=5 oIdx=0 buffer=3 iui=0
v_mfma_f32_16x16x32_bf8_fp8 a[164+0:167+0], v[vgprValuB_X0_I0+10+0+0:vgprValuB_X0_I0+10+0+0+1], v[vgprValuA_X0_I0+2+0+0:vgprValuA_X0_I0+2+0+0+1], a[164:167]
/*  mfmaIndex:47  */
/* localReadsVacancy: latencyLeft 2 */
_ds_load_b64 v[vgprValuB_X3_I0_D6+0:vgprValuB_X3_I0_D6+0+1], v[vgprLocalReadAddrB] offset:26112 // L -> Reg lro=24576 swapByteOffset=0 ti=256 vIdx=0 rIdx=6 oIdx=0 buffer=3 iui=0
v_mfma_f32_16x16x32_bf8_fp8 a[160+0:163+0], v[vgprValuB_X0_I0+10+0+0:vgprValuB_X0_I0+10+0+0+1], v[vgprValuA_X0_I0+0+0+0:vgprValuA_X0_I0+0+0+0+1], a[160:163]
/*  mfmaIndex:48  */
/* localReadsVacancy: latencyLeft 2 */
_ds_load_b64 v[vgprValuB_X3_I0_D7+0:vgprValuB_X3_I0_D7+0+1], v[vgprLocalReadAddrB] offset:26368 // L -> Reg lro=24576 swapByteOffset=0 ti=256 vIdx=0 rIdx=7 oIdx=0 buffer=3 iui=0
v_mfma_f32_16x16x32_bf8_fp8 a[192+0:195+0], v[vgprValuB_X0_I0+12+0+0:vgprValuB_X0_I0+12+0+0+1], v[vgprValuA_X0_I0+0+0+0:vgprValuA_X0_I0+0+0+0+1], a[192:195]
/*  mfmaIndex:49  */
/* localReadsVacancy: latencyLeft 2 */
v_mfma_f32_16x16x32_bf8_fp8 a[196+0:199+0], v[vgprValuB_X0_I0+12+0+0:vgprValuB_X0_I0+12+0+0+1], v[vgprValuA_X0_I0+2+0+0:vgprValuA_X0_I0+2+0+0+1], a[196:199]
/*  mfmaIndex:50  */
/* localReadsVacancy: latencyLeft 2 */
	;; [unrolled: 3-line block ×13, first 2 shown]
/* 1 LDS buffer: read-sync-write */
s_waitcnt lgkmcnt(0)                               // 
s_barrier                                          // 
v_mfma_f32_16x16x32_bf8_fp8 a[232+0:235+0], v[vgprValuB_X0_I0+14+0+0:vgprValuB_X0_I0+14+0+0+1], v[vgprValuA_X0_I0+4+0+0:vgprValuA_X0_I0+4+0+0+1], a[232:235]
/*  mfmaIndex:62  */
s_setprio 3                                        // store optimization
/* sched write - iter 0 writesPerItem=1 */
s_waitcnt vmcnt(0)                                 // lgkmcnt=-1 vmcnt=0wait for global read before writing to local
_ds_store_b128 v[vgprLocalWriteAddrA], v[vgprG2LA+0:vgprG2LA+0+3] offset:0 // lwoA_0_0_0_0 = (0*LSCA) + (0*LSPA)(*MT0I+PAD) = 0
v_mfma_f32_16x16x32_bf8_fp8 a[228+0:231+0], v[vgprValuB_X0_I0+14+0+0:vgprValuB_X0_I0+14+0+0+1], v[vgprValuA_X0_I0+2+0+0:vgprValuA_X0_I0+2+0+0+1], a[228:231]
/*  mfmaIndex:63  */
_buffer_load_b128 v[vgprG2LA+0:vgprG2LA+0+3], v[vgprGlobalReadOffsetA+0], s[sgprSrdA:sgprSrdA+3], 0, offen offset:0 // G -> Reg 0_0_0_0
v_mfma_f32_16x16x32_bf8_fp8 a[224+0:227+0], v[vgprValuB_X0_I0+14+0+0:vgprValuB_X0_I0+14+0+0+1], v[vgprValuA_X0_I0+0+0+0:vgprValuA_X0_I0+0+0+0+1], a[224:227]
/* numPrefetchIter=0 */
/* dataAtIterA=-1 numReadsIterA=1 skipReadsIterA=1 readsPerIterA=8 */
/* dataAtIterB=-1 numReadsIterB=1 skipReadsIterB=1 readsPerIterB=8 */


/* iter 1 */

/*  grEndMfmaIndex:12, lwStartMfmaIndex:62, lwEndMfmaIndex:229  */
/*  numMfmaForLR:21, barrierMfmaIndex:234, LocalWritePerMfma:0.090 */
/*  mfmaIndex:64  */
/* pack scheduling: packAIdx:6, packBIdx:6 */
v_perm_b32 v[vgprValuA_X1_I0+0], v[vgprValuA_X1_I0_D1+0], v[vgprValuA_X1_I0_D0+0], s[sgprPackKForV0] // select K=01 for vector=0
v_perm_b32 v[vgprPackTemp], v[vgprValuA_X1_I0_D3+0], v[vgprValuA_X1_I0_D2+0], s[sgprPackKForV0] // select K=23 for vector=0
_v_lshl_or_b32 v[vgprValuA_X1_I0+0], v[vgprPackTemp], 0x10, v[vgprValuA_X1_I0+0] // pack two half Vgpr to one Vgpr
v_perm_b32 v[vgprValuA_X1_I0+1], v[vgprValuA_X1_I0_D5+0], v[vgprValuA_X1_I0_D4+0], s[sgprPackKForV0] // select K=45 for vector=0
v_perm_b32 v[vgprPackTemp], v[vgprValuA_X1_I0_D7+0], v[vgprValuA_X1_I0_D6+0], s[sgprPackKForV0] // select K=67 for vector=0
_v_lshl_or_b32 v[vgprValuA_X1_I0+1], v[vgprPackTemp], 0x10, v[vgprValuA_X1_I0+1] // pack two half Vgpr to one Vgpr
v_perm_b32 v[vgprValuB_X1_I0+0], v[vgprValuB_X1_I0_D1+0], v[vgprValuB_X1_I0_D0+0], s[sgprPackKForV0] // select K=01 for vector=0
v_perm_b32 v[vgprPackTemp], v[vgprValuB_X1_I0_D3+0], v[vgprValuB_X1_I0_D2+0], s[sgprPackKForV0] // select K=23 for vector=0
_v_lshl_or_b32 v[vgprValuB_X1_I0+0], v[vgprPackTemp], 0x10, v[vgprValuB_X1_I0+0] // pack two half Vgpr to one Vgpr
v_perm_b32 v[vgprValuB_X1_I0+1], v[vgprValuB_X1_I0_D5+0], v[vgprValuB_X1_I0_D4+0], s[sgprPackKForV0] // select K=45 for vector=0
v_perm_b32 v[vgprPackTemp], v[vgprValuB_X1_I0_D7+0], v[vgprValuB_X1_I0_D6+0], s[sgprPackKForV0] // select K=67 for vector=0
_v_lshl_or_b32 v[vgprValuB_X1_I0+1], v[vgprPackTemp], 0x10, v[vgprValuB_X1_I0+1] // pack two half Vgpr to one Vgpr
v_perm_b32 v[vgprValuA_X1_I0+2], v[vgprValuA_X1_I0_D1+0], v[vgprValuA_X1_I0_D0+0], s[sgprPackKForV1] // select K=01 for vector=1
v_perm_b32 v[vgprPackTemp], v[vgprValuA_X1_I0_D3+0], v[vgprValuA_X1_I0_D2+0], s[sgprPackKForV1] // select K=23 for vector=1
_v_lshl_or_b32 v[vgprValuA_X1_I0+2], v[vgprPackTemp], 0x10, v[vgprValuA_X1_I0+2] // pack two half Vgpr to one Vgpr
v_perm_b32 v[vgprValuA_X1_I0+3], v[vgprValuA_X1_I0_D5+0], v[vgprValuA_X1_I0_D4+0], s[sgprPackKForV1] // select K=45 for vector=1
v_perm_b32 v[vgprPackTemp], v[vgprValuA_X1_I0_D7+0], v[vgprValuA_X1_I0_D6+0], s[sgprPackKForV1] // select K=67 for vector=1
_v_lshl_or_b32 v[vgprValuA_X1_I0+3], v[vgprPackTemp], 0x10, v[vgprValuA_X1_I0+3] // pack two half Vgpr to one Vgpr
v_mfma_f32_16x16x32_bf8_fp8 a[0+0:3+0], v[vgprValuB_X1_I0+0+0+0:vgprValuB_X1_I0+0+0+0+1], v[vgprValuA_X1_I0+0+0+0:vgprValuA_X1_I0+0+0+0+1], a[0:3]
/*  mfmaIndex:65  */
/* pack scheduling: packAIdx:12, packBIdx:6 */
v_perm_b32 v[vgprValuA_X1_I0+4], v[vgprValuA_X1_I0_D1+0], v[vgprValuA_X1_I0_D0+0], s[sgprPackKForV2] // select K=01 for vector=2
v_perm_b32 v[vgprPackTemp], v[vgprValuA_X1_I0_D3+0], v[vgprValuA_X1_I0_D2+0], s[sgprPackKForV2] // select K=23 for vector=2
_v_lshl_or_b32 v[vgprValuA_X1_I0+4], v[vgprPackTemp], 0x10, v[vgprValuA_X1_I0+4] // pack two half Vgpr to one Vgpr
v_perm_b32 v[vgprValuA_X1_I0+5], v[vgprValuA_X1_I0_D5+0], v[vgprValuA_X1_I0_D4+0], s[sgprPackKForV2] // select K=45 for vector=2
v_perm_b32 v[vgprPackTemp], v[vgprValuA_X1_I0_D7+0], v[vgprValuA_X1_I0_D6+0], s[sgprPackKForV2] // select K=67 for vector=2
_v_lshl_or_b32 v[vgprValuA_X1_I0+5], v[vgprPackTemp], 0x10, v[vgprValuA_X1_I0+5] // pack two half Vgpr to one Vgpr
v_mfma_f32_16x16x32_bf8_fp8 a[4+0:7+0], v[vgprValuB_X1_I0+0+0+0:vgprValuB_X1_I0+0+0+0+1], v[vgprValuA_X1_I0+2+0+0:vgprValuA_X1_I0+2+0+0+1], a[4:7]
/*  mfmaIndex:66  */
/* pack scheduling: packAIdx:18, packBIdx:6 */
v_perm_b32 v[vgprValuA_X1_I0+6], v[vgprValuA_X1_I0_D1+0], v[vgprValuA_X1_I0_D0+0], s[sgprPackKForV3] // select K=01 for vector=3
v_perm_b32 v[vgprPackTemp], v[vgprValuA_X1_I0_D3+0], v[vgprValuA_X1_I0_D2+0], s[sgprPackKForV3] // select K=23 for vector=3
_v_lshl_or_b32 v[vgprValuA_X1_I0+6], v[vgprPackTemp], 0x10, v[vgprValuA_X1_I0+6] // pack two half Vgpr to one Vgpr
v_perm_b32 v[vgprValuA_X1_I0+7], v[vgprValuA_X1_I0_D5+0], v[vgprValuA_X1_I0_D4+0], s[sgprPackKForV3] // select K=45 for vector=3
v_perm_b32 v[vgprPackTemp], v[vgprValuA_X1_I0_D7+0], v[vgprValuA_X1_I0_D6+0], s[sgprPackKForV3] // select K=67 for vector=3
_v_lshl_or_b32 v[vgprValuA_X1_I0+7], v[vgprPackTemp], 0x10, v[vgprValuA_X1_I0+7] // pack two half Vgpr to one Vgpr
v_mfma_f32_16x16x32_bf8_fp8 a[8+0:11+0], v[vgprValuB_X1_I0+0+0+0:vgprValuB_X1_I0+0+0+0+1], v[vgprValuA_X1_I0+4+0+0:vgprValuA_X1_I0+4+0+0+1], a[8:11]
/*  mfmaIndex:67  */
/* pack scheduling: packAIdx:24, packBIdx:6 */
v_perm_b32 v[vgprValuA_X1_I0+8], v[vgprValuA_X1_I0_D1+1], v[vgprValuA_X1_I0_D0+1], s[sgprPackKForV0] // select K=01 for vector=0
v_perm_b32 v[vgprPackTemp], v[vgprValuA_X1_I0_D3+1], v[vgprValuA_X1_I0_D2+1], s[sgprPackKForV0] // select K=23 for vector=0
_v_lshl_or_b32 v[vgprValuA_X1_I0+8], v[vgprPackTemp], 0x10, v[vgprValuA_X1_I0+8] // pack two half Vgpr to one Vgpr
v_perm_b32 v[vgprValuA_X1_I0+9], v[vgprValuA_X1_I0_D5+1], v[vgprValuA_X1_I0_D4+1], s[sgprPackKForV0] // select K=45 for vector=0
v_perm_b32 v[vgprPackTemp], v[vgprValuA_X1_I0_D7+1], v[vgprValuA_X1_I0_D6+1], s[sgprPackKForV0] // select K=67 for vector=0
_v_lshl_or_b32 v[vgprValuA_X1_I0+9], v[vgprPackTemp], 0x10, v[vgprValuA_X1_I0+9] // pack two half Vgpr to one Vgpr
v_mfma_f32_16x16x32_bf8_fp8 a[12+0:15+0], v[vgprValuB_X1_I0+0+0+0:vgprValuB_X1_I0+0+0+0+1], v[vgprValuA_X1_I0+6+0+0:vgprValuA_X1_I0+6+0+0+1], a[12:15]
/*  mfmaIndex:68  */
/* pack scheduling: packAIdx:30, packBIdx:6 */
v_perm_b32 v[vgprValuA_X1_I0+10], v[vgprValuA_X1_I0_D1+1], v[vgprValuA_X1_I0_D0+1], s[sgprPackKForV1] // select K=01 for vector=1
v_perm_b32 v[vgprPackTemp], v[vgprValuA_X1_I0_D3+1], v[vgprValuA_X1_I0_D2+1], s[sgprPackKForV1] // select K=23 for vector=1
_v_lshl_or_b32 v[vgprValuA_X1_I0+10], v[vgprPackTemp], 0x10, v[vgprValuA_X1_I0+10] // pack two half Vgpr to one Vgpr
v_perm_b32 v[vgprValuA_X1_I0+11], v[vgprValuA_X1_I0_D5+1], v[vgprValuA_X1_I0_D4+1], s[sgprPackKForV1] // select K=45 for vector=1
v_perm_b32 v[vgprPackTemp], v[vgprValuA_X1_I0_D7+1], v[vgprValuA_X1_I0_D6+1], s[sgprPackKForV1] // select K=67 for vector=1
_v_lshl_or_b32 v[vgprValuA_X1_I0+11], v[vgprPackTemp], 0x10, v[vgprValuA_X1_I0+11] // pack two half Vgpr to one Vgpr
v_mfma_f32_16x16x32_bf8_fp8 a[16+0:19+0], v[vgprValuB_X1_I0+0+0+0:vgprValuB_X1_I0+0+0+0+1], v[vgprValuA_X1_I0+8+0+0:vgprValuA_X1_I0+8+0+0+1], a[16:19]
/*  mfmaIndex:69  */
/* pack scheduling: packAIdx:36, packBIdx:6 */
v_perm_b32 v[vgprValuA_X1_I0+12], v[vgprValuA_X1_I0_D1+1], v[vgprValuA_X1_I0_D0+1], s[sgprPackKForV2] // select K=01 for vector=2
v_perm_b32 v[vgprPackTemp], v[vgprValuA_X1_I0_D3+1], v[vgprValuA_X1_I0_D2+1], s[sgprPackKForV2] // select K=23 for vector=2
_v_lshl_or_b32 v[vgprValuA_X1_I0+12], v[vgprPackTemp], 0x10, v[vgprValuA_X1_I0+12] // pack two half Vgpr to one Vgpr
v_perm_b32 v[vgprValuA_X1_I0+13], v[vgprValuA_X1_I0_D5+1], v[vgprValuA_X1_I0_D4+1], s[sgprPackKForV2] // select K=45 for vector=2
v_perm_b32 v[vgprPackTemp], v[vgprValuA_X1_I0_D7+1], v[vgprValuA_X1_I0_D6+1], s[sgprPackKForV2] // select K=67 for vector=2
_v_lshl_or_b32 v[vgprValuA_X1_I0+13], v[vgprPackTemp], 0x10, v[vgprValuA_X1_I0+13] // pack two half Vgpr to one Vgpr
v_mfma_f32_16x16x32_bf8_fp8 a[20+0:23+0], v[vgprValuB_X1_I0+0+0+0:vgprValuB_X1_I0+0+0+0+1], v[vgprValuA_X1_I0+10+0+0:vgprValuA_X1_I0+10+0+0+1], a[20:23]
/*  mfmaIndex:70  */
/* pack scheduling: packAIdx:42, packBIdx:6 */
v_perm_b32 v[vgprValuA_X1_I0+14], v[vgprValuA_X1_I0_D1+1], v[vgprValuA_X1_I0_D0+1], s[sgprPackKForV3] // select K=01 for vector=3
v_perm_b32 v[vgprPackTemp], v[vgprValuA_X1_I0_D3+1], v[vgprValuA_X1_I0_D2+1], s[sgprPackKForV3] // select K=23 for vector=3
_v_lshl_or_b32 v[vgprValuA_X1_I0+14], v[vgprPackTemp], 0x10, v[vgprValuA_X1_I0+14] // pack two half Vgpr to one Vgpr
v_perm_b32 v[vgprValuA_X1_I0+15], v[vgprValuA_X1_I0_D5+1], v[vgprValuA_X1_I0_D4+1], s[sgprPackKForV3] // select K=45 for vector=3
v_perm_b32 v[vgprPackTemp], v[vgprValuA_X1_I0_D7+1], v[vgprValuA_X1_I0_D6+1], s[sgprPackKForV3] // select K=67 for vector=3
_v_lshl_or_b32 v[vgprValuA_X1_I0+15], v[vgprPackTemp], 0x10, v[vgprValuA_X1_I0+15] // pack two half Vgpr to one Vgpr
v_mfma_f32_16x16x32_bf8_fp8 a[24+0:27+0], v[vgprValuB_X1_I0+0+0+0:vgprValuB_X1_I0+0+0+0+1], v[vgprValuA_X1_I0+12+0+0:vgprValuA_X1_I0+12+0+0+1], a[24:27]
/*  mfmaIndex:71  */
/* pack scheduling: packAIdx:48, packBIdx:6 */
v_perm_b32 v[vgprValuB_X1_I0+2], v[vgprValuB_X1_I0_D1+0], v[vgprValuB_X1_I0_D0+0], s[sgprPackKForV1] // select K=01 for vector=1
v_perm_b32 v[vgprPackTemp], v[vgprValuB_X1_I0_D3+0], v[vgprValuB_X1_I0_D2+0], s[sgprPackKForV1] // select K=23 for vector=1
_v_lshl_or_b32 v[vgprValuB_X1_I0+2], v[vgprPackTemp], 0x10, v[vgprValuB_X1_I0+2] // pack two half Vgpr to one Vgpr
v_perm_b32 v[vgprValuB_X1_I0+3], v[vgprValuB_X1_I0_D5+0], v[vgprValuB_X1_I0_D4+0], s[sgprPackKForV1] // select K=45 for vector=1
v_perm_b32 v[vgprPackTemp], v[vgprValuB_X1_I0_D7+0], v[vgprValuB_X1_I0_D6+0], s[sgprPackKForV1] // select K=67 for vector=1
_v_lshl_or_b32 v[vgprValuB_X1_I0+3], v[vgprPackTemp], 0x10, v[vgprValuB_X1_I0+3] // pack two half Vgpr to one Vgpr
v_mfma_f32_16x16x32_bf8_fp8 a[28+0:31+0], v[vgprValuB_X1_I0+0+0+0:vgprValuB_X1_I0+0+0+0+1], v[vgprValuA_X1_I0+14+0+0:vgprValuA_X1_I0+14+0+0+1], a[28:31]
/*  mfmaIndex:72  */
/* pack scheduling: packAIdx:48, packBIdx:12 */
v_perm_b32 v[vgprValuB_X1_I0+4], v[vgprValuB_X1_I0_D1+0], v[vgprValuB_X1_I0_D0+0], s[sgprPackKForV2] // select K=01 for vector=2
v_perm_b32 v[vgprPackTemp], v[vgprValuB_X1_I0_D3+0], v[vgprValuB_X1_I0_D2+0], s[sgprPackKForV2] // select K=23 for vector=2
_v_lshl_or_b32 v[vgprValuB_X1_I0+4], v[vgprPackTemp], 0x10, v[vgprValuB_X1_I0+4] // pack two half Vgpr to one Vgpr
v_perm_b32 v[vgprValuB_X1_I0+5], v[vgprValuB_X1_I0_D5+0], v[vgprValuB_X1_I0_D4+0], s[sgprPackKForV2] // select K=45 for vector=2
v_perm_b32 v[vgprPackTemp], v[vgprValuB_X1_I0_D7+0], v[vgprValuB_X1_I0_D6+0], s[sgprPackKForV2] // select K=67 for vector=2
_v_lshl_or_b32 v[vgprValuB_X1_I0+5], v[vgprPackTemp], 0x10, v[vgprValuB_X1_I0+5] // pack two half Vgpr to one Vgpr
v_mfma_f32_16x16x32_bf8_fp8 a[60+0:63+0], v[vgprValuB_X1_I0+2+0+0:vgprValuB_X1_I0+2+0+0+1], v[vgprValuA_X1_I0+14+0+0:vgprValuA_X1_I0+14+0+0+1], a[60:63]
/*  mfmaIndex:73  */
/* sched write - iter 1 writesPerItem=1 */
s_waitcnt vmcnt(0)                                 // lgkmcnt=-1 vmcnt=0wait for global read before writing to local
_ds_store_b128 v[vgprLocalWriteAddrA], v[vgprG2LA+4:vgprG2LA+4+3] offset:1024 // lwoA_0_0_1_0 = (0*LSCA) + (1*LSPA)(*MT0I+PAD) = 1024
/* pack scheduling: packAIdx:48, packBIdx:12 */
v_perm_b32 v[vgprValuB_X1_I0+6], v[vgprValuB_X1_I0_D1+0], v[vgprValuB_X1_I0_D0+0], s[sgprPackKForV3] // select K=01 for vector=3
v_perm_b32 v[vgprPackTemp], v[vgprValuB_X1_I0_D3+0], v[vgprValuB_X1_I0_D2+0], s[sgprPackKForV3] // select K=23 for vector=3
_v_lshl_or_b32 v[vgprValuB_X1_I0+6], v[vgprPackTemp], 0x10, v[vgprValuB_X1_I0+6] // pack two half Vgpr to one Vgpr
v_perm_b32 v[vgprValuB_X1_I0+7], v[vgprValuB_X1_I0_D5+0], v[vgprValuB_X1_I0_D4+0], s[sgprPackKForV3] // select K=45 for vector=3
v_perm_b32 v[vgprPackTemp], v[vgprValuB_X1_I0_D7+0], v[vgprValuB_X1_I0_D6+0], s[sgprPackKForV3] // select K=67 for vector=3
_v_lshl_or_b32 v[vgprValuB_X1_I0+7], v[vgprPackTemp], 0x10, v[vgprValuB_X1_I0+7] // pack two half Vgpr to one Vgpr
v_mfma_f32_16x16x32_bf8_fp8 a[56+0:59+0], v[vgprValuB_X1_I0+2+0+0:vgprValuB_X1_I0+2+0+0+1], v[vgprValuA_X1_I0+12+0+0:vgprValuA_X1_I0+12+0+0+1], a[56:59]
/*  mfmaIndex:74  */
_buffer_load_b128 v[vgprG2LA+4:vgprG2LA+4+3], v[vgprGlobalReadOffsetA+0], s[sgprSrdA:sgprSrdA+3], s[sgprScalarGlobalReadOffsetA+0], offen offset:0 // G -> Reg 0_0_1_0
/* pack scheduling: packAIdx:48, packBIdx:12 */
v_perm_b32 v[vgprValuB_X1_I0+8], v[vgprValuB_X1_I0_D1+1], v[vgprValuB_X1_I0_D0+1], s[sgprPackKForV0] // select K=01 for vector=0
v_perm_b32 v[vgprPackTemp], v[vgprValuB_X1_I0_D3+1], v[vgprValuB_X1_I0_D2+1], s[sgprPackKForV0] // select K=23 for vector=0
_v_lshl_or_b32 v[vgprValuB_X1_I0+8], v[vgprPackTemp], 0x10, v[vgprValuB_X1_I0+8] // pack two half Vgpr to one Vgpr
v_perm_b32 v[vgprValuB_X1_I0+9], v[vgprValuB_X1_I0_D5+1], v[vgprValuB_X1_I0_D4+1], s[sgprPackKForV0] // select K=45 for vector=0
v_perm_b32 v[vgprPackTemp], v[vgprValuB_X1_I0_D7+1], v[vgprValuB_X1_I0_D6+1], s[sgprPackKForV0] // select K=67 for vector=0
_v_lshl_or_b32 v[vgprValuB_X1_I0+9], v[vgprPackTemp], 0x10, v[vgprValuB_X1_I0+9] // pack two half Vgpr to one Vgpr
v_mfma_f32_16x16x32_bf8_fp8 a[52+0:55+0], v[vgprValuB_X1_I0+2+0+0:vgprValuB_X1_I0+2+0+0+1], v[vgprValuA_X1_I0+10+0+0:vgprValuA_X1_I0+10+0+0+1], a[52:55]
/*  mfmaIndex:75  */
/* pack scheduling: packAIdx:48, packBIdx:12 */
v_perm_b32 v[vgprValuB_X1_I0+10], v[vgprValuB_X1_I0_D1+1], v[vgprValuB_X1_I0_D0+1], s[sgprPackKForV1] // select K=01 for vector=1
v_perm_b32 v[vgprPackTemp], v[vgprValuB_X1_I0_D3+1], v[vgprValuB_X1_I0_D2+1], s[sgprPackKForV1] // select K=23 for vector=1
_v_lshl_or_b32 v[vgprValuB_X1_I0+10], v[vgprPackTemp], 0x10, v[vgprValuB_X1_I0+10] // pack two half Vgpr to one Vgpr
v_perm_b32 v[vgprValuB_X1_I0+11], v[vgprValuB_X1_I0_D5+1], v[vgprValuB_X1_I0_D4+1], s[sgprPackKForV1] // select K=45 for vector=1
v_perm_b32 v[vgprPackTemp], v[vgprValuB_X1_I0_D7+1], v[vgprValuB_X1_I0_D6+1], s[sgprPackKForV1] // select K=67 for vector=1
_v_lshl_or_b32 v[vgprValuB_X1_I0+11], v[vgprPackTemp], 0x10, v[vgprValuB_X1_I0+11] // pack two half Vgpr to one Vgpr
v_mfma_f32_16x16x32_bf8_fp8 a[48+0:51+0], v[vgprValuB_X1_I0+2+0+0:vgprValuB_X1_I0+2+0+0+1], v[vgprValuA_X1_I0+8+0+0:vgprValuA_X1_I0+8+0+0+1], a[48:51]
/*  mfmaIndex:76  */
/* pack scheduling: packAIdx:48, packBIdx:12 */
v_perm_b32 v[vgprValuB_X1_I0+12], v[vgprValuB_X1_I0_D1+1], v[vgprValuB_X1_I0_D0+1], s[sgprPackKForV2] // select K=01 for vector=2
v_perm_b32 v[vgprPackTemp], v[vgprValuB_X1_I0_D3+1], v[vgprValuB_X1_I0_D2+1], s[sgprPackKForV2] // select K=23 for vector=2
_v_lshl_or_b32 v[vgprValuB_X1_I0+12], v[vgprPackTemp], 0x10, v[vgprValuB_X1_I0+12] // pack two half Vgpr to one Vgpr
v_perm_b32 v[vgprValuB_X1_I0+13], v[vgprValuB_X1_I0_D5+1], v[vgprValuB_X1_I0_D4+1], s[sgprPackKForV2] // select K=45 for vector=2
v_perm_b32 v[vgprPackTemp], v[vgprValuB_X1_I0_D7+1], v[vgprValuB_X1_I0_D6+1], s[sgprPackKForV2] // select K=67 for vector=2
_v_lshl_or_b32 v[vgprValuB_X1_I0+13], v[vgprPackTemp], 0x10, v[vgprValuB_X1_I0+13] // pack two half Vgpr to one Vgpr
v_mfma_f32_16x16x32_bf8_fp8 a[44+0:47+0], v[vgprValuB_X1_I0+2+0+0:vgprValuB_X1_I0+2+0+0+1], v[vgprValuA_X1_I0+6+0+0:vgprValuA_X1_I0+6+0+0+1], a[44:47]
/*  mfmaIndex:77  */
/* pack scheduling: packAIdx:48, packBIdx:12 */
v_perm_b32 v[vgprValuB_X1_I0+14], v[vgprValuB_X1_I0_D1+1], v[vgprValuB_X1_I0_D0+1], s[sgprPackKForV3] // select K=01 for vector=3
v_perm_b32 v[vgprPackTemp], v[vgprValuB_X1_I0_D3+1], v[vgprValuB_X1_I0_D2+1], s[sgprPackKForV3] // select K=23 for vector=3
_v_lshl_or_b32 v[vgprValuB_X1_I0+14], v[vgprPackTemp], 0x10, v[vgprValuB_X1_I0+14] // pack two half Vgpr to one Vgpr
v_perm_b32 v[vgprValuB_X1_I0+15], v[vgprValuB_X1_I0_D5+1], v[vgprValuB_X1_I0_D4+1], s[sgprPackKForV3] // select K=45 for vector=3
v_perm_b32 v[vgprPackTemp], v[vgprValuB_X1_I0_D7+1], v[vgprValuB_X1_I0_D6+1], s[sgprPackKForV3] // select K=67 for vector=3
_v_lshl_or_b32 v[vgprValuB_X1_I0+15], v[vgprPackTemp], 0x10, v[vgprValuB_X1_I0+15] // pack two half Vgpr to one Vgpr
v_mfma_f32_16x16x32_bf8_fp8 a[40+0:43+0], v[vgprValuB_X1_I0+2+0+0:vgprValuB_X1_I0+2+0+0+1], v[vgprValuA_X1_I0+4+0+0:vgprValuA_X1_I0+4+0+0+1], a[40:43]
/*  mfmaIndex:78  */
v_mfma_f32_16x16x32_bf8_fp8 a[36+0:39+0], v[vgprValuB_X1_I0+2+0+0:vgprValuB_X1_I0+2+0+0+1], v[vgprValuA_X1_I0+2+0+0:vgprValuA_X1_I0+2+0+0+1], a[36:39]
/*  mfmaIndex:79  */
	;; [unrolled: 2-line block ×7, first 2 shown]
/* sched write - iter 1 writesPerItem=1 */
s_waitcnt vmcnt(0)                                 // lgkmcnt=-1 vmcnt=0wait for global read before writing to local
_ds_store_b128 v[vgprLocalWriteAddrA], v[vgprG2LA+8:vgprG2LA+8+3] offset:2048 // lwoA_0_0_2_0 = (0*LSCA) + (2*LSPA)(*MT0I+PAD) = 2048
v_mfma_f32_16x16x32_bf8_fp8 a[80+0:83+0], v[vgprValuB_X1_I0+4+0+0:vgprValuB_X1_I0+4+0+0+1], v[vgprValuA_X1_I0+8+0+0:vgprValuA_X1_I0+8+0+0+1], a[80:83]
/*  mfmaIndex:85  */
_buffer_load_b128 v[vgprG2LA+8:vgprG2LA+8+3], v[vgprGlobalReadOffsetA+0], s[sgprSrdA:sgprSrdA+3], s[sgprScalarGlobalReadOffsetA+1], offen offset:0 // G -> Reg 0_0_2_0
v_mfma_f32_16x16x32_bf8_fp8 a[84+0:87+0], v[vgprValuB_X1_I0+4+0+0:vgprValuB_X1_I0+4+0+0+1], v[vgprValuA_X1_I0+10+0+0:vgprValuA_X1_I0+10+0+0+1], a[84:87]
/*  mfmaIndex:86  */
v_mfma_f32_16x16x32_bf8_fp8 a[88+0:91+0], v[vgprValuB_X1_I0+4+0+0:vgprValuB_X1_I0+4+0+0+1], v[vgprValuA_X1_I0+12+0+0:vgprValuA_X1_I0+12+0+0+1], a[88:91]
/*  mfmaIndex:87  */
	;; [unrolled: 2-line block ×10, first 2 shown]
/* sched write - iter 1 writesPerItem=1 */
s_waitcnt vmcnt(0)                                 // lgkmcnt=-1 vmcnt=0wait for global read before writing to local
_ds_store_b128 v[vgprLocalWriteAddrA], v[vgprG2LA+12:vgprG2LA+12+3] offset:3072 // lwoA_0_0_3_0 = (0*LSCA) + (3*LSPA)(*MT0I+PAD) = 3072
v_mfma_f32_16x16x32_bf8_fp8 a[96+0:99+0], v[vgprValuB_X1_I0+6+0+0:vgprValuB_X1_I0+6+0+0+1], v[vgprValuA_X1_I0+0+0+0:vgprValuA_X1_I0+0+0+0+1], a[96:99]
/*  mfmaIndex:96  */
_buffer_load_b128 v[vgprG2LA+12:vgprG2LA+12+3], v[vgprGlobalReadOffsetA+0], s[sgprSrdA:sgprSrdA+3], s[sgprScalarGlobalReadOffsetA+2], offen offset:0 // G -> Reg 0_0_3_0
v_mfma_f32_16x16x32_bf8_fp8 a[128+0:131+0], v[vgprValuB_X1_I0+8+0+0:vgprValuB_X1_I0+8+0+0+1], v[vgprValuA_X1_I0+0+0+0:vgprValuA_X1_I0+0+0+0+1], a[128:131]
/*  mfmaIndex:97  */
v_mfma_f32_16x16x32_bf8_fp8 a[132+0:135+0], v[vgprValuB_X1_I0+8+0+0:vgprValuB_X1_I0+8+0+0+1], v[vgprValuA_X1_I0+2+0+0:vgprValuA_X1_I0+2+0+0+1], a[132:135]
/*  mfmaIndex:98  */
	;; [unrolled: 2-line block ×10, first 2 shown]
/* sched write - iter 1 writesPerItem=1 */
s_waitcnt vmcnt(0)                                 // lgkmcnt=-1 vmcnt=0wait for global read before writing to local
_ds_store_b128 v[vgprLocalWriteAddrA], v[vgprG2LA+16:vgprG2LA+16+3] offset:4096 // lwoA_0_0_4_0 = (0*LSCA) + (4*LSPA)(*MT0I+PAD) = 4096
v_mfma_f32_16x16x32_bf8_fp8 a[180+0:183+0], v[vgprValuB_X1_I0+10+0+0:vgprValuB_X1_I0+10+0+0+1], v[vgprValuA_X1_I0+10+0+0:vgprValuA_X1_I0+10+0+0+1], a[180:183]
/*  mfmaIndex:107  */
_buffer_load_b128 v[vgprG2LA+16:vgprG2LA+16+3], v[vgprGlobalReadOffsetA+0], s[sgprSrdA:sgprSrdA+3], s[sgprScalarGlobalReadOffsetA+3], offen offset:0 // G -> Reg 0_0_4_0
v_mfma_f32_16x16x32_bf8_fp8 a[176+0:179+0], v[vgprValuB_X1_I0+10+0+0:vgprValuB_X1_I0+10+0+0+1], v[vgprValuA_X1_I0+8+0+0:vgprValuA_X1_I0+8+0+0+1], a[176:179]
/*  mfmaIndex:108  */
v_mfma_f32_16x16x32_bf8_fp8 a[172+0:175+0], v[vgprValuB_X1_I0+10+0+0:vgprValuB_X1_I0+10+0+0+1], v[vgprValuA_X1_I0+6+0+0:vgprValuA_X1_I0+6+0+0+1], a[172:175]
/*  mfmaIndex:109  */
	;; [unrolled: 2-line block ×10, first 2 shown]
/* sched write - iter 1 writesPerItem=1 */
s_waitcnt vmcnt(0)                                 // lgkmcnt=-1 vmcnt=0wait for global read before writing to local
_ds_store_b128 v[vgprLocalWriteAddrA], v[vgprG2LA+20:vgprG2LA+20+3] offset:5120 // lwoA_0_0_5_0 = (0*LSCA) + (5*LSPA)(*MT0I+PAD) = 5120
v_mfma_f32_16x16x32_bf8_fp8 a[212+0:215+0], v[vgprValuB_X1_I0+12+0+0:vgprValuB_X1_I0+12+0+0+1], v[vgprValuA_X1_I0+10+0+0:vgprValuA_X1_I0+10+0+0+1], a[212:215]
/*  mfmaIndex:118  */
_buffer_load_b128 v[vgprG2LA+20:vgprG2LA+20+3], v[vgprGlobalReadOffsetA+0], s[sgprSrdA:sgprSrdA+3], s[sgprScalarGlobalReadOffsetA+4], offen offset:0 // G -> Reg 0_0_5_0
v_mfma_f32_16x16x32_bf8_fp8 a[216+0:219+0], v[vgprValuB_X1_I0+12+0+0:vgprValuB_X1_I0+12+0+0+1], v[vgprValuA_X1_I0+12+0+0:vgprValuA_X1_I0+12+0+0+1], a[216:219]
/*  mfmaIndex:119  */
v_mfma_f32_16x16x32_bf8_fp8 a[220+0:223+0], v[vgprValuB_X1_I0+12+0+0:vgprValuB_X1_I0+12+0+0+1], v[vgprValuA_X1_I0+14+0+0:vgprValuA_X1_I0+14+0+0+1], a[220:223]
/*  mfmaIndex:120  */
	;; [unrolled: 2-line block ×9, first 2 shown]
v_mfma_f32_16x16x32_bf8_fp8 a[224+0:227+0], v[vgprValuB_X1_I0+14+0+0:vgprValuB_X1_I0+14+0+0+1], v[vgprValuA_X1_I0+0+0+0:vgprValuA_X1_I0+0+0+0+1], a[224:227]


/* iter 2 (reset local read pointers iteration)  (swap local read pointers iteration)  */

/*  grEndMfmaIndex:12, lwStartMfmaIndex:62, lwEndMfmaIndex:229  */
/*  numMfmaForLR:21, barrierMfmaIndex:234, LocalWritePerMfma:0.090 */
/*  mfmaIndex:128  */
/* sched write - iter 2 writesPerItem=1 */
s_waitcnt vmcnt(0)                                 // lgkmcnt=-1 vmcnt=0wait for global read before writing to local
_ds_store_b128 v[vgprLocalWriteAddrA], v[vgprG2LA+24:vgprG2LA+24+3] offset:6144 // lwoA_0_0_6_0 = (0*LSCA) + (6*LSPA)(*MT0I+PAD) = 6144
/* pack scheduling: packAIdx:6, packBIdx:6 */
v_perm_b32 v[vgprValuA_X2_I0+0], v[vgprValuA_X2_I0_D1+0], v[vgprValuA_X2_I0_D0+0], s[sgprPackKForV0] // select K=01 for vector=0
v_perm_b32 v[vgprPackTemp], v[vgprValuA_X2_I0_D3+0], v[vgprValuA_X2_I0_D2+0], s[sgprPackKForV0] // select K=23 for vector=0
_v_lshl_or_b32 v[vgprValuA_X2_I0+0], v[vgprPackTemp], 0x10, v[vgprValuA_X2_I0+0] // pack two half Vgpr to one Vgpr
v_perm_b32 v[vgprValuA_X2_I0+1], v[vgprValuA_X2_I0_D5+0], v[vgprValuA_X2_I0_D4+0], s[sgprPackKForV0] // select K=45 for vector=0
v_perm_b32 v[vgprPackTemp], v[vgprValuA_X2_I0_D7+0], v[vgprValuA_X2_I0_D6+0], s[sgprPackKForV0] // select K=67 for vector=0
_v_lshl_or_b32 v[vgprValuA_X2_I0+1], v[vgprPackTemp], 0x10, v[vgprValuA_X2_I0+1] // pack two half Vgpr to one Vgpr
v_perm_b32 v[vgprValuB_X2_I0+0], v[vgprValuB_X2_I0_D1+0], v[vgprValuB_X2_I0_D0+0], s[sgprPackKForV0] // select K=01 for vector=0
v_perm_b32 v[vgprPackTemp], v[vgprValuB_X2_I0_D3+0], v[vgprValuB_X2_I0_D2+0], s[sgprPackKForV0] // select K=23 for vector=0
_v_lshl_or_b32 v[vgprValuB_X2_I0+0], v[vgprPackTemp], 0x10, v[vgprValuB_X2_I0+0] // pack two half Vgpr to one Vgpr
v_perm_b32 v[vgprValuB_X2_I0+1], v[vgprValuB_X2_I0_D5+0], v[vgprValuB_X2_I0_D4+0], s[sgprPackKForV0] // select K=45 for vector=0
v_perm_b32 v[vgprPackTemp], v[vgprValuB_X2_I0_D7+0], v[vgprValuB_X2_I0_D6+0], s[sgprPackKForV0] // select K=67 for vector=0
_v_lshl_or_b32 v[vgprValuB_X2_I0+1], v[vgprPackTemp], 0x10, v[vgprValuB_X2_I0+1] // pack two half Vgpr to one Vgpr
v_perm_b32 v[vgprValuA_X2_I0+2], v[vgprValuA_X2_I0_D1+0], v[vgprValuA_X2_I0_D0+0], s[sgprPackKForV1] // select K=01 for vector=1
v_perm_b32 v[vgprPackTemp], v[vgprValuA_X2_I0_D3+0], v[vgprValuA_X2_I0_D2+0], s[sgprPackKForV1] // select K=23 for vector=1
_v_lshl_or_b32 v[vgprValuA_X2_I0+2], v[vgprPackTemp], 0x10, v[vgprValuA_X2_I0+2] // pack two half Vgpr to one Vgpr
v_perm_b32 v[vgprValuA_X2_I0+3], v[vgprValuA_X2_I0_D5+0], v[vgprValuA_X2_I0_D4+0], s[sgprPackKForV1] // select K=45 for vector=1
v_perm_b32 v[vgprPackTemp], v[vgprValuA_X2_I0_D7+0], v[vgprValuA_X2_I0_D6+0], s[sgprPackKForV1] // select K=67 for vector=1
_v_lshl_or_b32 v[vgprValuA_X2_I0+3], v[vgprPackTemp], 0x10, v[vgprValuA_X2_I0+3] // pack two half Vgpr to one Vgpr
v_mfma_f32_16x16x32_bf8_fp8 a[0+0:3+0], v[vgprValuB_X2_I0+0+0+0:vgprValuB_X2_I0+0+0+0+1], v[vgprValuA_X2_I0+0+0+0:vgprValuA_X2_I0+0+0+0+1], a[0:3]
/*  mfmaIndex:129  */
_buffer_load_b128 v[vgprG2LA+24:vgprG2LA+24+3], v[vgprGlobalReadOffsetA+0], s[sgprSrdA:sgprSrdA+3], s[sgprScalarGlobalReadOffsetA+5], offen offset:0 // G -> Reg 0_0_6_0
/* pack scheduling: packAIdx:12, packBIdx:6 */
v_perm_b32 v[vgprValuA_X2_I0+4], v[vgprValuA_X2_I0_D1+0], v[vgprValuA_X2_I0_D0+0], s[sgprPackKForV2] // select K=01 for vector=2
v_perm_b32 v[vgprPackTemp], v[vgprValuA_X2_I0_D3+0], v[vgprValuA_X2_I0_D2+0], s[sgprPackKForV2] // select K=23 for vector=2
_v_lshl_or_b32 v[vgprValuA_X2_I0+4], v[vgprPackTemp], 0x10, v[vgprValuA_X2_I0+4] // pack two half Vgpr to one Vgpr
v_perm_b32 v[vgprValuA_X2_I0+5], v[vgprValuA_X2_I0_D5+0], v[vgprValuA_X2_I0_D4+0], s[sgprPackKForV2] // select K=45 for vector=2
v_perm_b32 v[vgprPackTemp], v[vgprValuA_X2_I0_D7+0], v[vgprValuA_X2_I0_D6+0], s[sgprPackKForV2] // select K=67 for vector=2
_v_lshl_or_b32 v[vgprValuA_X2_I0+5], v[vgprPackTemp], 0x10, v[vgprValuA_X2_I0+5] // pack two half Vgpr to one Vgpr
v_mfma_f32_16x16x32_bf8_fp8 a[4+0:7+0], v[vgprValuB_X2_I0+0+0+0:vgprValuB_X2_I0+0+0+0+1], v[vgprValuA_X2_I0+2+0+0:vgprValuA_X2_I0+2+0+0+1], a[4:7]
/*  mfmaIndex:130  */
/* pack scheduling: packAIdx:18, packBIdx:6 */
v_perm_b32 v[vgprValuA_X2_I0+6], v[vgprValuA_X2_I0_D1+0], v[vgprValuA_X2_I0_D0+0], s[sgprPackKForV3] // select K=01 for vector=3
v_perm_b32 v[vgprPackTemp], v[vgprValuA_X2_I0_D3+0], v[vgprValuA_X2_I0_D2+0], s[sgprPackKForV3] // select K=23 for vector=3
_v_lshl_or_b32 v[vgprValuA_X2_I0+6], v[vgprPackTemp], 0x10, v[vgprValuA_X2_I0+6] // pack two half Vgpr to one Vgpr
v_perm_b32 v[vgprValuA_X2_I0+7], v[vgprValuA_X2_I0_D5+0], v[vgprValuA_X2_I0_D4+0], s[sgprPackKForV3] // select K=45 for vector=3
v_perm_b32 v[vgprPackTemp], v[vgprValuA_X2_I0_D7+0], v[vgprValuA_X2_I0_D6+0], s[sgprPackKForV3] // select K=67 for vector=3
_v_lshl_or_b32 v[vgprValuA_X2_I0+7], v[vgprPackTemp], 0x10, v[vgprValuA_X2_I0+7] // pack two half Vgpr to one Vgpr
v_mfma_f32_16x16x32_bf8_fp8 a[8+0:11+0], v[vgprValuB_X2_I0+0+0+0:vgprValuB_X2_I0+0+0+0+1], v[vgprValuA_X2_I0+4+0+0:vgprValuA_X2_I0+4+0+0+1], a[8:11]
/*  mfmaIndex:131  */
/* pack scheduling: packAIdx:24, packBIdx:6 */
v_perm_b32 v[vgprValuA_X2_I0+8], v[vgprValuA_X2_I0_D1+1], v[vgprValuA_X2_I0_D0+1], s[sgprPackKForV0] // select K=01 for vector=0
v_perm_b32 v[vgprPackTemp], v[vgprValuA_X2_I0_D3+1], v[vgprValuA_X2_I0_D2+1], s[sgprPackKForV0] // select K=23 for vector=0
_v_lshl_or_b32 v[vgprValuA_X2_I0+8], v[vgprPackTemp], 0x10, v[vgprValuA_X2_I0+8] // pack two half Vgpr to one Vgpr
v_perm_b32 v[vgprValuA_X2_I0+9], v[vgprValuA_X2_I0_D5+1], v[vgprValuA_X2_I0_D4+1], s[sgprPackKForV0] // select K=45 for vector=0
v_perm_b32 v[vgprPackTemp], v[vgprValuA_X2_I0_D7+1], v[vgprValuA_X2_I0_D6+1], s[sgprPackKForV0] // select K=67 for vector=0
_v_lshl_or_b32 v[vgprValuA_X2_I0+9], v[vgprPackTemp], 0x10, v[vgprValuA_X2_I0+9] // pack two half Vgpr to one Vgpr
v_mfma_f32_16x16x32_bf8_fp8 a[12+0:15+0], v[vgprValuB_X2_I0+0+0+0:vgprValuB_X2_I0+0+0+0+1], v[vgprValuA_X2_I0+6+0+0:vgprValuA_X2_I0+6+0+0+1], a[12:15]
/*  mfmaIndex:132  */
/* pack scheduling: packAIdx:30, packBIdx:6 */
v_perm_b32 v[vgprValuA_X2_I0+10], v[vgprValuA_X2_I0_D1+1], v[vgprValuA_X2_I0_D0+1], s[sgprPackKForV1] // select K=01 for vector=1
v_perm_b32 v[vgprPackTemp], v[vgprValuA_X2_I0_D3+1], v[vgprValuA_X2_I0_D2+1], s[sgprPackKForV1] // select K=23 for vector=1
_v_lshl_or_b32 v[vgprValuA_X2_I0+10], v[vgprPackTemp], 0x10, v[vgprValuA_X2_I0+10] // pack two half Vgpr to one Vgpr
v_perm_b32 v[vgprValuA_X2_I0+11], v[vgprValuA_X2_I0_D5+1], v[vgprValuA_X2_I0_D4+1], s[sgprPackKForV1] // select K=45 for vector=1
v_perm_b32 v[vgprPackTemp], v[vgprValuA_X2_I0_D7+1], v[vgprValuA_X2_I0_D6+1], s[sgprPackKForV1] // select K=67 for vector=1
_v_lshl_or_b32 v[vgprValuA_X2_I0+11], v[vgprPackTemp], 0x10, v[vgprValuA_X2_I0+11] // pack two half Vgpr to one Vgpr
v_mfma_f32_16x16x32_bf8_fp8 a[16+0:19+0], v[vgprValuB_X2_I0+0+0+0:vgprValuB_X2_I0+0+0+0+1], v[vgprValuA_X2_I0+8+0+0:vgprValuA_X2_I0+8+0+0+1], a[16:19]
/*  mfmaIndex:133  */
/* pack scheduling: packAIdx:36, packBIdx:6 */
v_perm_b32 v[vgprValuA_X2_I0+12], v[vgprValuA_X2_I0_D1+1], v[vgprValuA_X2_I0_D0+1], s[sgprPackKForV2] // select K=01 for vector=2
v_perm_b32 v[vgprPackTemp], v[vgprValuA_X2_I0_D3+1], v[vgprValuA_X2_I0_D2+1], s[sgprPackKForV2] // select K=23 for vector=2
_v_lshl_or_b32 v[vgprValuA_X2_I0+12], v[vgprPackTemp], 0x10, v[vgprValuA_X2_I0+12] // pack two half Vgpr to one Vgpr
v_perm_b32 v[vgprValuA_X2_I0+13], v[vgprValuA_X2_I0_D5+1], v[vgprValuA_X2_I0_D4+1], s[sgprPackKForV2] // select K=45 for vector=2
v_perm_b32 v[vgprPackTemp], v[vgprValuA_X2_I0_D7+1], v[vgprValuA_X2_I0_D6+1], s[sgprPackKForV2] // select K=67 for vector=2
_v_lshl_or_b32 v[vgprValuA_X2_I0+13], v[vgprPackTemp], 0x10, v[vgprValuA_X2_I0+13] // pack two half Vgpr to one Vgpr
v_mfma_f32_16x16x32_bf8_fp8 a[20+0:23+0], v[vgprValuB_X2_I0+0+0+0:vgprValuB_X2_I0+0+0+0+1], v[vgprValuA_X2_I0+10+0+0:vgprValuA_X2_I0+10+0+0+1], a[20:23]
/*  mfmaIndex:134  */
/* pack scheduling: packAIdx:42, packBIdx:6 */
v_perm_b32 v[vgprValuA_X2_I0+14], v[vgprValuA_X2_I0_D1+1], v[vgprValuA_X2_I0_D0+1], s[sgprPackKForV3] // select K=01 for vector=3
v_perm_b32 v[vgprPackTemp], v[vgprValuA_X2_I0_D3+1], v[vgprValuA_X2_I0_D2+1], s[sgprPackKForV3] // select K=23 for vector=3
_v_lshl_or_b32 v[vgprValuA_X2_I0+14], v[vgprPackTemp], 0x10, v[vgprValuA_X2_I0+14] // pack two half Vgpr to one Vgpr
v_perm_b32 v[vgprValuA_X2_I0+15], v[vgprValuA_X2_I0_D5+1], v[vgprValuA_X2_I0_D4+1], s[sgprPackKForV3] // select K=45 for vector=3
v_perm_b32 v[vgprPackTemp], v[vgprValuA_X2_I0_D7+1], v[vgprValuA_X2_I0_D6+1], s[sgprPackKForV3] // select K=67 for vector=3
_v_lshl_or_b32 v[vgprValuA_X2_I0+15], v[vgprPackTemp], 0x10, v[vgprValuA_X2_I0+15] // pack two half Vgpr to one Vgpr
v_mfma_f32_16x16x32_bf8_fp8 a[24+0:27+0], v[vgprValuB_X2_I0+0+0+0:vgprValuB_X2_I0+0+0+0+1], v[vgprValuA_X2_I0+12+0+0:vgprValuA_X2_I0+12+0+0+1], a[24:27]
/*  mfmaIndex:135  */
/* pack scheduling: packAIdx:48, packBIdx:6 */
v_perm_b32 v[vgprValuB_X2_I0+2], v[vgprValuB_X2_I0_D1+0], v[vgprValuB_X2_I0_D0+0], s[sgprPackKForV1] // select K=01 for vector=1
v_perm_b32 v[vgprPackTemp], v[vgprValuB_X2_I0_D3+0], v[vgprValuB_X2_I0_D2+0], s[sgprPackKForV1] // select K=23 for vector=1
_v_lshl_or_b32 v[vgprValuB_X2_I0+2], v[vgprPackTemp], 0x10, v[vgprValuB_X2_I0+2] // pack two half Vgpr to one Vgpr
v_perm_b32 v[vgprValuB_X2_I0+3], v[vgprValuB_X2_I0_D5+0], v[vgprValuB_X2_I0_D4+0], s[sgprPackKForV1] // select K=45 for vector=1
v_perm_b32 v[vgprPackTemp], v[vgprValuB_X2_I0_D7+0], v[vgprValuB_X2_I0_D6+0], s[sgprPackKForV1] // select K=67 for vector=1
_v_lshl_or_b32 v[vgprValuB_X2_I0+3], v[vgprPackTemp], 0x10, v[vgprValuB_X2_I0+3] // pack two half Vgpr to one Vgpr
v_mfma_f32_16x16x32_bf8_fp8 a[28+0:31+0], v[vgprValuB_X2_I0+0+0+0:vgprValuB_X2_I0+0+0+0+1], v[vgprValuA_X2_I0+14+0+0:vgprValuA_X2_I0+14+0+0+1], a[28:31]
/*  mfmaIndex:136  */
/* pack scheduling: packAIdx:48, packBIdx:12 */
v_perm_b32 v[vgprValuB_X2_I0+4], v[vgprValuB_X2_I0_D1+0], v[vgprValuB_X2_I0_D0+0], s[sgprPackKForV2] // select K=01 for vector=2
v_perm_b32 v[vgprPackTemp], v[vgprValuB_X2_I0_D3+0], v[vgprValuB_X2_I0_D2+0], s[sgprPackKForV2] // select K=23 for vector=2
_v_lshl_or_b32 v[vgprValuB_X2_I0+4], v[vgprPackTemp], 0x10, v[vgprValuB_X2_I0+4] // pack two half Vgpr to one Vgpr
v_perm_b32 v[vgprValuB_X2_I0+5], v[vgprValuB_X2_I0_D5+0], v[vgprValuB_X2_I0_D4+0], s[sgprPackKForV2] // select K=45 for vector=2
v_perm_b32 v[vgprPackTemp], v[vgprValuB_X2_I0_D7+0], v[vgprValuB_X2_I0_D6+0], s[sgprPackKForV2] // select K=67 for vector=2
_v_lshl_or_b32 v[vgprValuB_X2_I0+5], v[vgprPackTemp], 0x10, v[vgprValuB_X2_I0+5] // pack two half Vgpr to one Vgpr
v_mfma_f32_16x16x32_bf8_fp8 a[60+0:63+0], v[vgprValuB_X2_I0+2+0+0:vgprValuB_X2_I0+2+0+0+1], v[vgprValuA_X2_I0+14+0+0:vgprValuA_X2_I0+14+0+0+1], a[60:63]
/*  mfmaIndex:137  */
/* pack scheduling: packAIdx:48, packBIdx:12 */
v_perm_b32 v[vgprValuB_X2_I0+6], v[vgprValuB_X2_I0_D1+0], v[vgprValuB_X2_I0_D0+0], s[sgprPackKForV3] // select K=01 for vector=3
v_perm_b32 v[vgprPackTemp], v[vgprValuB_X2_I0_D3+0], v[vgprValuB_X2_I0_D2+0], s[sgprPackKForV3] // select K=23 for vector=3
_v_lshl_or_b32 v[vgprValuB_X2_I0+6], v[vgprPackTemp], 0x10, v[vgprValuB_X2_I0+6] // pack two half Vgpr to one Vgpr
v_perm_b32 v[vgprValuB_X2_I0+7], v[vgprValuB_X2_I0_D5+0], v[vgprValuB_X2_I0_D4+0], s[sgprPackKForV3] // select K=45 for vector=3
v_perm_b32 v[vgprPackTemp], v[vgprValuB_X2_I0_D7+0], v[vgprValuB_X2_I0_D6+0], s[sgprPackKForV3] // select K=67 for vector=3
_v_lshl_or_b32 v[vgprValuB_X2_I0+7], v[vgprPackTemp], 0x10, v[vgprValuB_X2_I0+7] // pack two half Vgpr to one Vgpr
v_mfma_f32_16x16x32_bf8_fp8 a[56+0:59+0], v[vgprValuB_X2_I0+2+0+0:vgprValuB_X2_I0+2+0+0+1], v[vgprValuA_X2_I0+12+0+0:vgprValuA_X2_I0+12+0+0+1], a[56:59]
/*  mfmaIndex:138  */
/* pack scheduling: packAIdx:48, packBIdx:12 */
v_perm_b32 v[vgprValuB_X2_I0+8], v[vgprValuB_X2_I0_D1+1], v[vgprValuB_X2_I0_D0+1], s[sgprPackKForV0] // select K=01 for vector=0
v_perm_b32 v[vgprPackTemp], v[vgprValuB_X2_I0_D3+1], v[vgprValuB_X2_I0_D2+1], s[sgprPackKForV0] // select K=23 for vector=0
_v_lshl_or_b32 v[vgprValuB_X2_I0+8], v[vgprPackTemp], 0x10, v[vgprValuB_X2_I0+8] // pack two half Vgpr to one Vgpr
v_perm_b32 v[vgprValuB_X2_I0+9], v[vgprValuB_X2_I0_D5+1], v[vgprValuB_X2_I0_D4+1], s[sgprPackKForV0] // select K=45 for vector=0
v_perm_b32 v[vgprPackTemp], v[vgprValuB_X2_I0_D7+1], v[vgprValuB_X2_I0_D6+1], s[sgprPackKForV0] // select K=67 for vector=0
_v_lshl_or_b32 v[vgprValuB_X2_I0+9], v[vgprPackTemp], 0x10, v[vgprValuB_X2_I0+9] // pack two half Vgpr to one Vgpr
v_mfma_f32_16x16x32_bf8_fp8 a[52+0:55+0], v[vgprValuB_X2_I0+2+0+0:vgprValuB_X2_I0+2+0+0+1], v[vgprValuA_X2_I0+10+0+0:vgprValuA_X2_I0+10+0+0+1], a[52:55]
/*  mfmaIndex:139  */
/* sched write - iter 2 writesPerItem=1 */
s_waitcnt vmcnt(0)                                 // lgkmcnt=-1 vmcnt=0wait for global read before writing to local
_ds_store_b128 v[vgprLocalWriteAddrA], v[vgprG2LA+28:vgprG2LA+28+3] offset:7168 // lwoA_0_0_7_0 = (0*LSCA) + (7*LSPA)(*MT0I+PAD) = 7168
/* pack scheduling: packAIdx:48, packBIdx:12 */
v_perm_b32 v[vgprValuB_X2_I0+10], v[vgprValuB_X2_I0_D1+1], v[vgprValuB_X2_I0_D0+1], s[sgprPackKForV1] // select K=01 for vector=1
v_perm_b32 v[vgprPackTemp], v[vgprValuB_X2_I0_D3+1], v[vgprValuB_X2_I0_D2+1], s[sgprPackKForV1] // select K=23 for vector=1
_v_lshl_or_b32 v[vgprValuB_X2_I0+10], v[vgprPackTemp], 0x10, v[vgprValuB_X2_I0+10] // pack two half Vgpr to one Vgpr
v_perm_b32 v[vgprValuB_X2_I0+11], v[vgprValuB_X2_I0_D5+1], v[vgprValuB_X2_I0_D4+1], s[sgprPackKForV1] // select K=45 for vector=1
v_perm_b32 v[vgprPackTemp], v[vgprValuB_X2_I0_D7+1], v[vgprValuB_X2_I0_D6+1], s[sgprPackKForV1] // select K=67 for vector=1
_v_lshl_or_b32 v[vgprValuB_X2_I0+11], v[vgprPackTemp], 0x10, v[vgprValuB_X2_I0+11] // pack two half Vgpr to one Vgpr
v_mfma_f32_16x16x32_bf8_fp8 a[48+0:51+0], v[vgprValuB_X2_I0+2+0+0:vgprValuB_X2_I0+2+0+0+1], v[vgprValuA_X2_I0+8+0+0:vgprValuA_X2_I0+8+0+0+1], a[48:51]
/*  mfmaIndex:140  */
_buffer_load_b128 v[vgprG2LA+28:vgprG2LA+28+3], v[vgprGlobalReadOffsetA+0], s[sgprSrdA:sgprSrdA+3], s[sgprScalarGlobalReadOffsetA+6], offen offset:0 // G -> Reg 0_0_7_0
/* pack scheduling: packAIdx:48, packBIdx:12 */
v_perm_b32 v[vgprValuB_X2_I0+12], v[vgprValuB_X2_I0_D1+1], v[vgprValuB_X2_I0_D0+1], s[sgprPackKForV2] // select K=01 for vector=2
v_perm_b32 v[vgprPackTemp], v[vgprValuB_X2_I0_D3+1], v[vgprValuB_X2_I0_D2+1], s[sgprPackKForV2] // select K=23 for vector=2
_v_lshl_or_b32 v[vgprValuB_X2_I0+12], v[vgprPackTemp], 0x10, v[vgprValuB_X2_I0+12] // pack two half Vgpr to one Vgpr
v_perm_b32 v[vgprValuB_X2_I0+13], v[vgprValuB_X2_I0_D5+1], v[vgprValuB_X2_I0_D4+1], s[sgprPackKForV2] // select K=45 for vector=2
v_perm_b32 v[vgprPackTemp], v[vgprValuB_X2_I0_D7+1], v[vgprValuB_X2_I0_D6+1], s[sgprPackKForV2] // select K=67 for vector=2
_v_lshl_or_b32 v[vgprValuB_X2_I0+13], v[vgprPackTemp], 0x10, v[vgprValuB_X2_I0+13] // pack two half Vgpr to one Vgpr
v_mfma_f32_16x16x32_bf8_fp8 a[44+0:47+0], v[vgprValuB_X2_I0+2+0+0:vgprValuB_X2_I0+2+0+0+1], v[vgprValuA_X2_I0+6+0+0:vgprValuA_X2_I0+6+0+0+1], a[44:47]
/*  mfmaIndex:141  */
/* pack scheduling: packAIdx:48, packBIdx:12 */
v_perm_b32 v[vgprValuB_X2_I0+14], v[vgprValuB_X2_I0_D1+1], v[vgprValuB_X2_I0_D0+1], s[sgprPackKForV3] // select K=01 for vector=3
v_perm_b32 v[vgprPackTemp], v[vgprValuB_X2_I0_D3+1], v[vgprValuB_X2_I0_D2+1], s[sgprPackKForV3] // select K=23 for vector=3
_v_lshl_or_b32 v[vgprValuB_X2_I0+14], v[vgprPackTemp], 0x10, v[vgprValuB_X2_I0+14] // pack two half Vgpr to one Vgpr
v_perm_b32 v[vgprValuB_X2_I0+15], v[vgprValuB_X2_I0_D5+1], v[vgprValuB_X2_I0_D4+1], s[sgprPackKForV3] // select K=45 for vector=3
v_perm_b32 v[vgprPackTemp], v[vgprValuB_X2_I0_D7+1], v[vgprValuB_X2_I0_D6+1], s[sgprPackKForV3] // select K=67 for vector=3
_v_lshl_or_b32 v[vgprValuB_X2_I0+15], v[vgprPackTemp], 0x10, v[vgprValuB_X2_I0+15] // pack two half Vgpr to one Vgpr
v_mfma_f32_16x16x32_bf8_fp8 a[40+0:43+0], v[vgprValuB_X2_I0+2+0+0:vgprValuB_X2_I0+2+0+0+1], v[vgprValuA_X2_I0+4+0+0:vgprValuA_X2_I0+4+0+0+1], a[40:43]
/*  mfmaIndex:142  */
v_mfma_f32_16x16x32_bf8_fp8 a[36+0:39+0], v[vgprValuB_X2_I0+2+0+0:vgprValuB_X2_I0+2+0+0+1], v[vgprValuA_X2_I0+2+0+0:vgprValuA_X2_I0+2+0+0+1], a[36:39]
/*  mfmaIndex:143  */
	;; [unrolled: 2-line block ×9, first 2 shown]
/* sched write - iter 2 writesPerItem=1 */
s_waitcnt vmcnt(0)                                 // lgkmcnt=-1 vmcnt=0wait for global read before writing to local
_ds_store_b128 v[vgprLocalWriteAddrB], v[vgprG2LB+0:vgprG2LB+0+3] offset:0 // lwoB_0_0_0_0 = (0*LSCB) + (0*LSPB)(*MT1J+PAD) = 0
v_mfma_f32_16x16x32_bf8_fp8 a[88+0:91+0], v[vgprValuB_X2_I0+4+0+0:vgprValuB_X2_I0+4+0+0+1], v[vgprValuA_X2_I0+12+0+0:vgprValuA_X2_I0+12+0+0+1], a[88:91]
/*  mfmaIndex:151  */
_buffer_load_b128 v[vgprG2LB+0:vgprG2LB+0+3], v[vgprGlobalReadOffsetB+0], s[sgprSrdB:sgprSrdB+3], 0, offen offset:0 // G -> Reg 0_0_0_0
v_mfma_f32_16x16x32_bf8_fp8 a[92+0:95+0], v[vgprValuB_X2_I0+4+0+0:vgprValuB_X2_I0+4+0+0+1], v[vgprValuA_X2_I0+14+0+0:vgprValuA_X2_I0+14+0+0+1], a[92:95]
/*  mfmaIndex:152  */
v_mfma_f32_16x16x32_bf8_fp8 a[124+0:127+0], v[vgprValuB_X2_I0+6+0+0:vgprValuB_X2_I0+6+0+0+1], v[vgprValuA_X2_I0+14+0+0:vgprValuA_X2_I0+14+0+0+1], a[124:127]
/*  mfmaIndex:153  */
	;; [unrolled: 2-line block ×11, first 2 shown]
/* sched write - iter 2 writesPerItem=1 */
s_waitcnt vmcnt(0)                                 // lgkmcnt=-1 vmcnt=0wait for global read before writing to local
_ds_store_b128 v[vgprLocalWriteAddrB], v[vgprG2LB+4:vgprG2LB+4+3] offset:1024 // lwoB_0_0_1_0 = (0*LSCB) + (1*LSPB)(*MT1J+PAD) = 1024
v_mfma_f32_16x16x32_bf8_fp8 a[136+0:139+0], v[vgprValuB_X2_I0+8+0+0:vgprValuB_X2_I0+8+0+0+1], v[vgprValuA_X2_I0+4+0+0:vgprValuA_X2_I0+4+0+0+1], a[136:139]
/*  mfmaIndex:163  */
_buffer_load_b128 v[vgprG2LB+4:vgprG2LB+4+3], v[vgprGlobalReadOffsetB+0], s[sgprSrdB:sgprSrdB+3], s[sgprScalarGlobalReadOffsetB+0], offen offset:0 // G -> Reg 0_0_1_0
v_mfma_f32_16x16x32_bf8_fp8 a[140+0:143+0], v[vgprValuB_X2_I0+8+0+0:vgprValuB_X2_I0+8+0+0+1], v[vgprValuA_X2_I0+6+0+0:vgprValuA_X2_I0+6+0+0+1], a[140:143]
/*  mfmaIndex:164  */
v_mfma_f32_16x16x32_bf8_fp8 a[144+0:147+0], v[vgprValuB_X2_I0+8+0+0:vgprValuB_X2_I0+8+0+0+1], v[vgprValuA_X2_I0+8+0+0:vgprValuA_X2_I0+8+0+0+1], a[144:147]
/*  mfmaIndex:165  */
	;; [unrolled: 2-line block ×10, first 2 shown]
/* sched write - iter 2 writesPerItem=1 */
s_waitcnt vmcnt(0)                                 // lgkmcnt=-1 vmcnt=0wait for global read before writing to local
_ds_store_b128 v[vgprLocalWriteAddrB], v[vgprG2LB+8:vgprG2LB+8+3] offset:2048 // lwoB_0_0_2_0 = (0*LSCB) + (2*LSPB)(*MT1J+PAD) = 2048
v_mfma_f32_16x16x32_bf8_fp8 a[168+0:171+0], v[vgprValuB_X2_I0+10+0+0:vgprValuB_X2_I0+10+0+0+1], v[vgprValuA_X2_I0+4+0+0:vgprValuA_X2_I0+4+0+0+1], a[168:171]
/*  mfmaIndex:174  */
_buffer_load_b128 v[vgprG2LB+8:vgprG2LB+8+3], v[vgprGlobalReadOffsetB+0], s[sgprSrdB:sgprSrdB+3], s[sgprScalarGlobalReadOffsetB+1], offen offset:0 // G -> Reg 0_0_2_0
v_mfma_f32_16x16x32_bf8_fp8 a[164+0:167+0], v[vgprValuB_X2_I0+10+0+0:vgprValuB_X2_I0+10+0+0+1], v[vgprValuA_X2_I0+2+0+0:vgprValuA_X2_I0+2+0+0+1], a[164:167]
/*  mfmaIndex:175  */
v_mfma_f32_16x16x32_bf8_fp8 a[160+0:163+0], v[vgprValuB_X2_I0+10+0+0:vgprValuB_X2_I0+10+0+0+1], v[vgprValuA_X2_I0+0+0+0:vgprValuA_X2_I0+0+0+0+1], a[160:163]
/*  mfmaIndex:176  */
	;; [unrolled: 2-line block ×10, first 2 shown]
/* sched write - iter 2 writesPerItem=1 */
s_waitcnt vmcnt(0)                                 // lgkmcnt=-1 vmcnt=0wait for global read before writing to local
_ds_store_b128 v[vgprLocalWriteAddrB], v[vgprG2LB+12:vgprG2LB+12+3] offset:3072 // lwoB_0_0_3_0 = (0*LSCB) + (3*LSPB)(*MT1J+PAD) = 3072
v_mfma_f32_16x16x32_bf8_fp8 a[252+0:255+0], v[vgprValuB_X2_I0+14+0+0:vgprValuB_X2_I0+14+0+0+1], v[vgprValuA_X2_I0+14+0+0:vgprValuA_X2_I0+14+0+0+1], a[252:255]
/*  mfmaIndex:185  */
_buffer_load_b128 v[vgprG2LB+12:vgprG2LB+12+3], v[vgprGlobalReadOffsetB+0], s[sgprSrdB:sgprSrdB+3], s[sgprScalarGlobalReadOffsetB+2], offen offset:0 // G -> Reg 0_0_3_0
v_mfma_f32_16x16x32_bf8_fp8 a[248+0:251+0], v[vgprValuB_X2_I0+14+0+0:vgprValuB_X2_I0+14+0+0+1], v[vgprValuA_X2_I0+12+0+0:vgprValuA_X2_I0+12+0+0+1], a[248:251]
/*  mfmaIndex:186  */
v_mfma_f32_16x16x32_bf8_fp8 a[244+0:247+0], v[vgprValuB_X2_I0+14+0+0:vgprValuB_X2_I0+14+0+0+1], v[vgprValuA_X2_I0+10+0+0:vgprValuA_X2_I0+10+0+0+1], a[244:247]
/*  mfmaIndex:187  */
	;; [unrolled: 2-line block ×6, first 2 shown]

/* local read swap offsets a */

/* local read swap offsets b */

/* local read init pointers a */

/* localReadInitPointers */

/* local read init pointers b */

/* localReadInitPointers */
v_mfma_f32_16x16x32_bf8_fp8 a[224+0:227+0], v[vgprValuB_X2_I0+14+0+0:vgprValuB_X2_I0+14+0+0+1], v[vgprValuA_X2_I0+0+0+0:vgprValuA_X2_I0+0+0+0+1], a[224:227]


/* iter 3 (swap and reset local write pointers iteration)  */

/*  grEndMfmaIndex:12, lwStartMfmaIndex:62, lwEndMfmaIndex:229  */
/*  numMfmaForLR:21, barrierMfmaIndex:234, LocalWritePerMfma:0.090 */
/*  mfmaIndex:192  */
/* pack scheduling: packAIdx:6, packBIdx:6 */
v_perm_b32 v[vgprValuA_X3_I0+0], v[vgprValuA_X3_I0_D1+0], v[vgprValuA_X3_I0_D0+0], s[sgprPackKForV0] // select K=01 for vector=0
v_perm_b32 v[vgprPackTemp], v[vgprValuA_X3_I0_D3+0], v[vgprValuA_X3_I0_D2+0], s[sgprPackKForV0] // select K=23 for vector=0
_v_lshl_or_b32 v[vgprValuA_X3_I0+0], v[vgprPackTemp], 0x10, v[vgprValuA_X3_I0+0] // pack two half Vgpr to one Vgpr
v_perm_b32 v[vgprValuA_X3_I0+1], v[vgprValuA_X3_I0_D5+0], v[vgprValuA_X3_I0_D4+0], s[sgprPackKForV0] // select K=45 for vector=0
v_perm_b32 v[vgprPackTemp], v[vgprValuA_X3_I0_D7+0], v[vgprValuA_X3_I0_D6+0], s[sgprPackKForV0] // select K=67 for vector=0
_v_lshl_or_b32 v[vgprValuA_X3_I0+1], v[vgprPackTemp], 0x10, v[vgprValuA_X3_I0+1] // pack two half Vgpr to one Vgpr
v_perm_b32 v[vgprValuB_X3_I0+0], v[vgprValuB_X3_I0_D1+0], v[vgprValuB_X3_I0_D0+0], s[sgprPackKForV0] // select K=01 for vector=0
v_perm_b32 v[vgprPackTemp], v[vgprValuB_X3_I0_D3+0], v[vgprValuB_X3_I0_D2+0], s[sgprPackKForV0] // select K=23 for vector=0
_v_lshl_or_b32 v[vgprValuB_X3_I0+0], v[vgprPackTemp], 0x10, v[vgprValuB_X3_I0+0] // pack two half Vgpr to one Vgpr
v_perm_b32 v[vgprValuB_X3_I0+1], v[vgprValuB_X3_I0_D5+0], v[vgprValuB_X3_I0_D4+0], s[sgprPackKForV0] // select K=45 for vector=0
v_perm_b32 v[vgprPackTemp], v[vgprValuB_X3_I0_D7+0], v[vgprValuB_X3_I0_D6+0], s[sgprPackKForV0] // select K=67 for vector=0
_v_lshl_or_b32 v[vgprValuB_X3_I0+1], v[vgprPackTemp], 0x10, v[vgprValuB_X3_I0+1] // pack two half Vgpr to one Vgpr
v_perm_b32 v[vgprValuA_X3_I0+2], v[vgprValuA_X3_I0_D1+0], v[vgprValuA_X3_I0_D0+0], s[sgprPackKForV1] // select K=01 for vector=1
v_perm_b32 v[vgprPackTemp], v[vgprValuA_X3_I0_D3+0], v[vgprValuA_X3_I0_D2+0], s[sgprPackKForV1] // select K=23 for vector=1
_v_lshl_or_b32 v[vgprValuA_X3_I0+2], v[vgprPackTemp], 0x10, v[vgprValuA_X3_I0+2] // pack two half Vgpr to one Vgpr
v_perm_b32 v[vgprValuA_X3_I0+3], v[vgprValuA_X3_I0_D5+0], v[vgprValuA_X3_I0_D4+0], s[sgprPackKForV1] // select K=45 for vector=1
v_perm_b32 v[vgprPackTemp], v[vgprValuA_X3_I0_D7+0], v[vgprValuA_X3_I0_D6+0], s[sgprPackKForV1] // select K=67 for vector=1
_v_lshl_or_b32 v[vgprValuA_X3_I0+3], v[vgprPackTemp], 0x10, v[vgprValuA_X3_I0+3] // pack two half Vgpr to one Vgpr
v_mfma_f32_16x16x32_bf8_fp8 a[0+0:3+0], v[vgprValuB_X3_I0+0+0+0:vgprValuB_X3_I0+0+0+0+1], v[vgprValuA_X3_I0+0+0+0:vgprValuA_X3_I0+0+0+0+1], a[0:3]
/*  mfmaIndex:193  */
/* pack scheduling: packAIdx:12, packBIdx:6 */
v_perm_b32 v[vgprValuA_X3_I0+4], v[vgprValuA_X3_I0_D1+0], v[vgprValuA_X3_I0_D0+0], s[sgprPackKForV2] // select K=01 for vector=2
v_perm_b32 v[vgprPackTemp], v[vgprValuA_X3_I0_D3+0], v[vgprValuA_X3_I0_D2+0], s[sgprPackKForV2] // select K=23 for vector=2
_v_lshl_or_b32 v[vgprValuA_X3_I0+4], v[vgprPackTemp], 0x10, v[vgprValuA_X3_I0+4] // pack two half Vgpr to one Vgpr
v_perm_b32 v[vgprValuA_X3_I0+5], v[vgprValuA_X3_I0_D5+0], v[vgprValuA_X3_I0_D4+0], s[sgprPackKForV2] // select K=45 for vector=2
v_perm_b32 v[vgprPackTemp], v[vgprValuA_X3_I0_D7+0], v[vgprValuA_X3_I0_D6+0], s[sgprPackKForV2] // select K=67 for vector=2
_v_lshl_or_b32 v[vgprValuA_X3_I0+5], v[vgprPackTemp], 0x10, v[vgprValuA_X3_I0+5] // pack two half Vgpr to one Vgpr
v_mfma_f32_16x16x32_bf8_fp8 a[4+0:7+0], v[vgprValuB_X3_I0+0+0+0:vgprValuB_X3_I0+0+0+0+1], v[vgprValuA_X3_I0+2+0+0:vgprValuA_X3_I0+2+0+0+1], a[4:7]
/*  mfmaIndex:194  */
/* pack scheduling: packAIdx:18, packBIdx:6 */
v_perm_b32 v[vgprValuA_X3_I0+6], v[vgprValuA_X3_I0_D1+0], v[vgprValuA_X3_I0_D0+0], s[sgprPackKForV3] // select K=01 for vector=3
v_perm_b32 v[vgprPackTemp], v[vgprValuA_X3_I0_D3+0], v[vgprValuA_X3_I0_D2+0], s[sgprPackKForV3] // select K=23 for vector=3
_v_lshl_or_b32 v[vgprValuA_X3_I0+6], v[vgprPackTemp], 0x10, v[vgprValuA_X3_I0+6] // pack two half Vgpr to one Vgpr
v_perm_b32 v[vgprValuA_X3_I0+7], v[vgprValuA_X3_I0_D5+0], v[vgprValuA_X3_I0_D4+0], s[sgprPackKForV3] // select K=45 for vector=3
v_perm_b32 v[vgprPackTemp], v[vgprValuA_X3_I0_D7+0], v[vgprValuA_X3_I0_D6+0], s[sgprPackKForV3] // select K=67 for vector=3
_v_lshl_or_b32 v[vgprValuA_X3_I0+7], v[vgprPackTemp], 0x10, v[vgprValuA_X3_I0+7] // pack two half Vgpr to one Vgpr
v_mfma_f32_16x16x32_bf8_fp8 a[8+0:11+0], v[vgprValuB_X3_I0+0+0+0:vgprValuB_X3_I0+0+0+0+1], v[vgprValuA_X3_I0+4+0+0:vgprValuA_X3_I0+4+0+0+1], a[8:11]
/*  mfmaIndex:195  */
/* sched write - iter 3 writesPerItem=1 */
s_waitcnt vmcnt(0)                                 // lgkmcnt=-1 vmcnt=0wait for global read before writing to local
_ds_store_b128 v[vgprLocalWriteAddrB], v[vgprG2LB+16:vgprG2LB+16+3] offset:4096 // lwoB_0_0_4_0 = (0*LSCB) + (4*LSPB)(*MT1J+PAD) = 4096
/* pack scheduling: packAIdx:24, packBIdx:6 */
v_perm_b32 v[vgprValuA_X3_I0+8], v[vgprValuA_X3_I0_D1+1], v[vgprValuA_X3_I0_D0+1], s[sgprPackKForV0] // select K=01 for vector=0
v_perm_b32 v[vgprPackTemp], v[vgprValuA_X3_I0_D3+1], v[vgprValuA_X3_I0_D2+1], s[sgprPackKForV0] // select K=23 for vector=0
_v_lshl_or_b32 v[vgprValuA_X3_I0+8], v[vgprPackTemp], 0x10, v[vgprValuA_X3_I0+8] // pack two half Vgpr to one Vgpr
v_perm_b32 v[vgprValuA_X3_I0+9], v[vgprValuA_X3_I0_D5+1], v[vgprValuA_X3_I0_D4+1], s[sgprPackKForV0] // select K=45 for vector=0
v_perm_b32 v[vgprPackTemp], v[vgprValuA_X3_I0_D7+1], v[vgprValuA_X3_I0_D6+1], s[sgprPackKForV0] // select K=67 for vector=0
_v_lshl_or_b32 v[vgprValuA_X3_I0+9], v[vgprPackTemp], 0x10, v[vgprValuA_X3_I0+9] // pack two half Vgpr to one Vgpr
v_mfma_f32_16x16x32_bf8_fp8 a[12+0:15+0], v[vgprValuB_X3_I0+0+0+0:vgprValuB_X3_I0+0+0+0+1], v[vgprValuA_X3_I0+6+0+0:vgprValuA_X3_I0+6+0+0+1], a[12:15]
/*  mfmaIndex:196  */
_buffer_load_b128 v[vgprG2LB+16:vgprG2LB+16+3], v[vgprGlobalReadOffsetB+0], s[sgprSrdB:sgprSrdB+3], s[sgprScalarGlobalReadOffsetB+3], offen offset:0 // G -> Reg 0_0_4_0
/* pack scheduling: packAIdx:30, packBIdx:6 */
v_perm_b32 v[vgprValuA_X3_I0+10], v[vgprValuA_X3_I0_D1+1], v[vgprValuA_X3_I0_D0+1], s[sgprPackKForV1] // select K=01 for vector=1
v_perm_b32 v[vgprPackTemp], v[vgprValuA_X3_I0_D3+1], v[vgprValuA_X3_I0_D2+1], s[sgprPackKForV1] // select K=23 for vector=1
_v_lshl_or_b32 v[vgprValuA_X3_I0+10], v[vgprPackTemp], 0x10, v[vgprValuA_X3_I0+10] // pack two half Vgpr to one Vgpr
v_perm_b32 v[vgprValuA_X3_I0+11], v[vgprValuA_X3_I0_D5+1], v[vgprValuA_X3_I0_D4+1], s[sgprPackKForV1] // select K=45 for vector=1
v_perm_b32 v[vgprPackTemp], v[vgprValuA_X3_I0_D7+1], v[vgprValuA_X3_I0_D6+1], s[sgprPackKForV1] // select K=67 for vector=1
_v_lshl_or_b32 v[vgprValuA_X3_I0+11], v[vgprPackTemp], 0x10, v[vgprValuA_X3_I0+11] // pack two half Vgpr to one Vgpr
v_mfma_f32_16x16x32_bf8_fp8 a[16+0:19+0], v[vgprValuB_X3_I0+0+0+0:vgprValuB_X3_I0+0+0+0+1], v[vgprValuA_X3_I0+8+0+0:vgprValuA_X3_I0+8+0+0+1], a[16:19]
/*  mfmaIndex:197  */
/* pack scheduling: packAIdx:36, packBIdx:6 */
v_perm_b32 v[vgprValuA_X3_I0+12], v[vgprValuA_X3_I0_D1+1], v[vgprValuA_X3_I0_D0+1], s[sgprPackKForV2] // select K=01 for vector=2
v_perm_b32 v[vgprPackTemp], v[vgprValuA_X3_I0_D3+1], v[vgprValuA_X3_I0_D2+1], s[sgprPackKForV2] // select K=23 for vector=2
_v_lshl_or_b32 v[vgprValuA_X3_I0+12], v[vgprPackTemp], 0x10, v[vgprValuA_X3_I0+12] // pack two half Vgpr to one Vgpr
v_perm_b32 v[vgprValuA_X3_I0+13], v[vgprValuA_X3_I0_D5+1], v[vgprValuA_X3_I0_D4+1], s[sgprPackKForV2] // select K=45 for vector=2
v_perm_b32 v[vgprPackTemp], v[vgprValuA_X3_I0_D7+1], v[vgprValuA_X3_I0_D6+1], s[sgprPackKForV2] // select K=67 for vector=2
_v_lshl_or_b32 v[vgprValuA_X3_I0+13], v[vgprPackTemp], 0x10, v[vgprValuA_X3_I0+13] // pack two half Vgpr to one Vgpr
v_mfma_f32_16x16x32_bf8_fp8 a[20+0:23+0], v[vgprValuB_X3_I0+0+0+0:vgprValuB_X3_I0+0+0+0+1], v[vgprValuA_X3_I0+10+0+0:vgprValuA_X3_I0+10+0+0+1], a[20:23]
/*  mfmaIndex:198  */
/* pack scheduling: packAIdx:42, packBIdx:6 */
v_perm_b32 v[vgprValuA_X3_I0+14], v[vgprValuA_X3_I0_D1+1], v[vgprValuA_X3_I0_D0+1], s[sgprPackKForV3] // select K=01 for vector=3
v_perm_b32 v[vgprPackTemp], v[vgprValuA_X3_I0_D3+1], v[vgprValuA_X3_I0_D2+1], s[sgprPackKForV3] // select K=23 for vector=3
_v_lshl_or_b32 v[vgprValuA_X3_I0+14], v[vgprPackTemp], 0x10, v[vgprValuA_X3_I0+14] // pack two half Vgpr to one Vgpr
v_perm_b32 v[vgprValuA_X3_I0+15], v[vgprValuA_X3_I0_D5+1], v[vgprValuA_X3_I0_D4+1], s[sgprPackKForV3] // select K=45 for vector=3
v_perm_b32 v[vgprPackTemp], v[vgprValuA_X3_I0_D7+1], v[vgprValuA_X3_I0_D6+1], s[sgprPackKForV3] // select K=67 for vector=3
_v_lshl_or_b32 v[vgprValuA_X3_I0+15], v[vgprPackTemp], 0x10, v[vgprValuA_X3_I0+15] // pack two half Vgpr to one Vgpr
v_mfma_f32_16x16x32_bf8_fp8 a[24+0:27+0], v[vgprValuB_X3_I0+0+0+0:vgprValuB_X3_I0+0+0+0+1], v[vgprValuA_X3_I0+12+0+0:vgprValuA_X3_I0+12+0+0+1], a[24:27]
/*  mfmaIndex:199  */
/* pack scheduling: packAIdx:48, packBIdx:6 */
v_perm_b32 v[vgprValuB_X3_I0+2], v[vgprValuB_X3_I0_D1+0], v[vgprValuB_X3_I0_D0+0], s[sgprPackKForV1] // select K=01 for vector=1
v_perm_b32 v[vgprPackTemp], v[vgprValuB_X3_I0_D3+0], v[vgprValuB_X3_I0_D2+0], s[sgprPackKForV1] // select K=23 for vector=1
_v_lshl_or_b32 v[vgprValuB_X3_I0+2], v[vgprPackTemp], 0x10, v[vgprValuB_X3_I0+2] // pack two half Vgpr to one Vgpr
v_perm_b32 v[vgprValuB_X3_I0+3], v[vgprValuB_X3_I0_D5+0], v[vgprValuB_X3_I0_D4+0], s[sgprPackKForV1] // select K=45 for vector=1
v_perm_b32 v[vgprPackTemp], v[vgprValuB_X3_I0_D7+0], v[vgprValuB_X3_I0_D6+0], s[sgprPackKForV1] // select K=67 for vector=1
_v_lshl_or_b32 v[vgprValuB_X3_I0+3], v[vgprPackTemp], 0x10, v[vgprValuB_X3_I0+3] // pack two half Vgpr to one Vgpr
v_mfma_f32_16x16x32_bf8_fp8 a[28+0:31+0], v[vgprValuB_X3_I0+0+0+0:vgprValuB_X3_I0+0+0+0+1], v[vgprValuA_X3_I0+14+0+0:vgprValuA_X3_I0+14+0+0+1], a[28:31]
/*  mfmaIndex:200  */
/* pack scheduling: packAIdx:48, packBIdx:12 */
v_perm_b32 v[vgprValuB_X3_I0+4], v[vgprValuB_X3_I0_D1+0], v[vgprValuB_X3_I0_D0+0], s[sgprPackKForV2] // select K=01 for vector=2
v_perm_b32 v[vgprPackTemp], v[vgprValuB_X3_I0_D3+0], v[vgprValuB_X3_I0_D2+0], s[sgprPackKForV2] // select K=23 for vector=2
_v_lshl_or_b32 v[vgprValuB_X3_I0+4], v[vgprPackTemp], 0x10, v[vgprValuB_X3_I0+4] // pack two half Vgpr to one Vgpr
v_perm_b32 v[vgprValuB_X3_I0+5], v[vgprValuB_X3_I0_D5+0], v[vgprValuB_X3_I0_D4+0], s[sgprPackKForV2] // select K=45 for vector=2
v_perm_b32 v[vgprPackTemp], v[vgprValuB_X3_I0_D7+0], v[vgprValuB_X3_I0_D6+0], s[sgprPackKForV2] // select K=67 for vector=2
_v_lshl_or_b32 v[vgprValuB_X3_I0+5], v[vgprPackTemp], 0x10, v[vgprValuB_X3_I0+5] // pack two half Vgpr to one Vgpr
v_mfma_f32_16x16x32_bf8_fp8 a[60+0:63+0], v[vgprValuB_X3_I0+2+0+0:vgprValuB_X3_I0+2+0+0+1], v[vgprValuA_X3_I0+14+0+0:vgprValuA_X3_I0+14+0+0+1], a[60:63]
/*  mfmaIndex:201  */
/* pack scheduling: packAIdx:48, packBIdx:12 */
v_perm_b32 v[vgprValuB_X3_I0+6], v[vgprValuB_X3_I0_D1+0], v[vgprValuB_X3_I0_D0+0], s[sgprPackKForV3] // select K=01 for vector=3
v_perm_b32 v[vgprPackTemp], v[vgprValuB_X3_I0_D3+0], v[vgprValuB_X3_I0_D2+0], s[sgprPackKForV3] // select K=23 for vector=3
_v_lshl_or_b32 v[vgprValuB_X3_I0+6], v[vgprPackTemp], 0x10, v[vgprValuB_X3_I0+6] // pack two half Vgpr to one Vgpr
v_perm_b32 v[vgprValuB_X3_I0+7], v[vgprValuB_X3_I0_D5+0], v[vgprValuB_X3_I0_D4+0], s[sgprPackKForV3] // select K=45 for vector=3
v_perm_b32 v[vgprPackTemp], v[vgprValuB_X3_I0_D7+0], v[vgprValuB_X3_I0_D6+0], s[sgprPackKForV3] // select K=67 for vector=3
_v_lshl_or_b32 v[vgprValuB_X3_I0+7], v[vgprPackTemp], 0x10, v[vgprValuB_X3_I0+7] // pack two half Vgpr to one Vgpr
v_mfma_f32_16x16x32_bf8_fp8 a[56+0:59+0], v[vgprValuB_X3_I0+2+0+0:vgprValuB_X3_I0+2+0+0+1], v[vgprValuA_X3_I0+12+0+0:vgprValuA_X3_I0+12+0+0+1], a[56:59]
/*  mfmaIndex:202  */
/* pack scheduling: packAIdx:48, packBIdx:12 */
v_perm_b32 v[vgprValuB_X3_I0+8], v[vgprValuB_X3_I0_D1+1], v[vgprValuB_X3_I0_D0+1], s[sgprPackKForV0] // select K=01 for vector=0
v_perm_b32 v[vgprPackTemp], v[vgprValuB_X3_I0_D3+1], v[vgprValuB_X3_I0_D2+1], s[sgprPackKForV0] // select K=23 for vector=0
_v_lshl_or_b32 v[vgprValuB_X3_I0+8], v[vgprPackTemp], 0x10, v[vgprValuB_X3_I0+8] // pack two half Vgpr to one Vgpr
v_perm_b32 v[vgprValuB_X3_I0+9], v[vgprValuB_X3_I0_D5+1], v[vgprValuB_X3_I0_D4+1], s[sgprPackKForV0] // select K=45 for vector=0
v_perm_b32 v[vgprPackTemp], v[vgprValuB_X3_I0_D7+1], v[vgprValuB_X3_I0_D6+1], s[sgprPackKForV0] // select K=67 for vector=0
_v_lshl_or_b32 v[vgprValuB_X3_I0+9], v[vgprPackTemp], 0x10, v[vgprValuB_X3_I0+9] // pack two half Vgpr to one Vgpr
v_mfma_f32_16x16x32_bf8_fp8 a[52+0:55+0], v[vgprValuB_X3_I0+2+0+0:vgprValuB_X3_I0+2+0+0+1], v[vgprValuA_X3_I0+10+0+0:vgprValuA_X3_I0+10+0+0+1], a[52:55]
/*  mfmaIndex:203  */
/* pack scheduling: packAIdx:48, packBIdx:12 */
v_perm_b32 v[vgprValuB_X3_I0+10], v[vgprValuB_X3_I0_D1+1], v[vgprValuB_X3_I0_D0+1], s[sgprPackKForV1] // select K=01 for vector=1
v_perm_b32 v[vgprPackTemp], v[vgprValuB_X3_I0_D3+1], v[vgprValuB_X3_I0_D2+1], s[sgprPackKForV1] // select K=23 for vector=1
_v_lshl_or_b32 v[vgprValuB_X3_I0+10], v[vgprPackTemp], 0x10, v[vgprValuB_X3_I0+10] // pack two half Vgpr to one Vgpr
v_perm_b32 v[vgprValuB_X3_I0+11], v[vgprValuB_X3_I0_D5+1], v[vgprValuB_X3_I0_D4+1], s[sgprPackKForV1] // select K=45 for vector=1
v_perm_b32 v[vgprPackTemp], v[vgprValuB_X3_I0_D7+1], v[vgprValuB_X3_I0_D6+1], s[sgprPackKForV1] // select K=67 for vector=1
_v_lshl_or_b32 v[vgprValuB_X3_I0+11], v[vgprPackTemp], 0x10, v[vgprValuB_X3_I0+11] // pack two half Vgpr to one Vgpr
v_mfma_f32_16x16x32_bf8_fp8 a[48+0:51+0], v[vgprValuB_X3_I0+2+0+0:vgprValuB_X3_I0+2+0+0+1], v[vgprValuA_X3_I0+8+0+0:vgprValuA_X3_I0+8+0+0+1], a[48:51]
/*  mfmaIndex:204  */
/* pack scheduling: packAIdx:48, packBIdx:12 */
v_perm_b32 v[vgprValuB_X3_I0+12], v[vgprValuB_X3_I0_D1+1], v[vgprValuB_X3_I0_D0+1], s[sgprPackKForV2] // select K=01 for vector=2
v_perm_b32 v[vgprPackTemp], v[vgprValuB_X3_I0_D3+1], v[vgprValuB_X3_I0_D2+1], s[sgprPackKForV2] // select K=23 for vector=2
_v_lshl_or_b32 v[vgprValuB_X3_I0+12], v[vgprPackTemp], 0x10, v[vgprValuB_X3_I0+12] // pack two half Vgpr to one Vgpr
v_perm_b32 v[vgprValuB_X3_I0+13], v[vgprValuB_X3_I0_D5+1], v[vgprValuB_X3_I0_D4+1], s[sgprPackKForV2] // select K=45 for vector=2
v_perm_b32 v[vgprPackTemp], v[vgprValuB_X3_I0_D7+1], v[vgprValuB_X3_I0_D6+1], s[sgprPackKForV2] // select K=67 for vector=2
_v_lshl_or_b32 v[vgprValuB_X3_I0+13], v[vgprPackTemp], 0x10, v[vgprValuB_X3_I0+13] // pack two half Vgpr to one Vgpr
v_mfma_f32_16x16x32_bf8_fp8 a[44+0:47+0], v[vgprValuB_X3_I0+2+0+0:vgprValuB_X3_I0+2+0+0+1], v[vgprValuA_X3_I0+6+0+0:vgprValuA_X3_I0+6+0+0+1], a[44:47]
/*  mfmaIndex:205  */
/* pack scheduling: packAIdx:48, packBIdx:12 */
v_perm_b32 v[vgprValuB_X3_I0+14], v[vgprValuB_X3_I0_D1+1], v[vgprValuB_X3_I0_D0+1], s[sgprPackKForV3] // select K=01 for vector=3
v_perm_b32 v[vgprPackTemp], v[vgprValuB_X3_I0_D3+1], v[vgprValuB_X3_I0_D2+1], s[sgprPackKForV3] // select K=23 for vector=3
_v_lshl_or_b32 v[vgprValuB_X3_I0+14], v[vgprPackTemp], 0x10, v[vgprValuB_X3_I0+14] // pack two half Vgpr to one Vgpr
v_perm_b32 v[vgprValuB_X3_I0+15], v[vgprValuB_X3_I0_D5+1], v[vgprValuB_X3_I0_D4+1], s[sgprPackKForV3] // select K=45 for vector=3
v_perm_b32 v[vgprPackTemp], v[vgprValuB_X3_I0_D7+1], v[vgprValuB_X3_I0_D6+1], s[sgprPackKForV3] // select K=67 for vector=3
_v_lshl_or_b32 v[vgprValuB_X3_I0+15], v[vgprPackTemp], 0x10, v[vgprValuB_X3_I0+15] // pack two half Vgpr to one Vgpr
v_mfma_f32_16x16x32_bf8_fp8 a[40+0:43+0], v[vgprValuB_X3_I0+2+0+0:vgprValuB_X3_I0+2+0+0+1], v[vgprValuA_X3_I0+4+0+0:vgprValuA_X3_I0+4+0+0+1], a[40:43]
/*  mfmaIndex:206  */
/* sched write - iter 3 writesPerItem=1 */
s_waitcnt vmcnt(0)                                 // lgkmcnt=-1 vmcnt=0wait for global read before writing to local
_ds_store_b128 v[vgprLocalWriteAddrB], v[vgprG2LB+20:vgprG2LB+20+3] offset:5120 // lwoB_0_0_5_0 = (0*LSCB) + (5*LSPB)(*MT1J+PAD) = 5120
v_mfma_f32_16x16x32_bf8_fp8 a[36+0:39+0], v[vgprValuB_X3_I0+2+0+0:vgprValuB_X3_I0+2+0+0+1], v[vgprValuA_X3_I0+2+0+0:vgprValuA_X3_I0+2+0+0+1], a[36:39]
/*  mfmaIndex:207  */
_buffer_load_b128 v[vgprG2LB+20:vgprG2LB+20+3], v[vgprGlobalReadOffsetB+0], s[sgprSrdB:sgprSrdB+3], s[sgprScalarGlobalReadOffsetB+4], offen offset:0 // G -> Reg 0_0_5_0
v_mfma_f32_16x16x32_bf8_fp8 a[32+0:35+0], v[vgprValuB_X3_I0+2+0+0:vgprValuB_X3_I0+2+0+0+1], v[vgprValuA_X3_I0+0+0+0:vgprValuA_X3_I0+0+0+0+1], a[32:35]
/*  mfmaIndex:208  */
v_mfma_f32_16x16x32_bf8_fp8 a[64+0:67+0], v[vgprValuB_X3_I0+4+0+0:vgprValuB_X3_I0+4+0+0+1], v[vgprValuA_X3_I0+0+0+0:vgprValuA_X3_I0+0+0+0+1], a[64:67]
/*  mfmaIndex:209  */
	;; [unrolled: 2-line block ×10, first 2 shown]
/* sched write - iter 3 writesPerItem=1 */
s_waitcnt vmcnt(0)                                 // lgkmcnt=-1 vmcnt=0wait for global read before writing to local
_ds_store_b128 v[vgprLocalWriteAddrB], v[vgprG2LB+24:vgprG2LB+24+3] offset:6144 // lwoB_0_0_6_0 = (0*LSCB) + (6*LSPB)(*MT1J+PAD) = 6144
v_mfma_f32_16x16x32_bf8_fp8 a[120+0:123+0], v[vgprValuB_X3_I0+6+0+0:vgprValuB_X3_I0+6+0+0+1], v[vgprValuA_X3_I0+12+0+0:vgprValuA_X3_I0+12+0+0+1], a[120:123]
/*  mfmaIndex:218  */
_buffer_load_b128 v[vgprG2LB+24:vgprG2LB+24+3], v[vgprGlobalReadOffsetB+0], s[sgprSrdB:sgprSrdB+3], s[sgprScalarGlobalReadOffsetB+5], offen offset:0 // G -> Reg 0_0_6_0
v_mfma_f32_16x16x32_bf8_fp8 a[116+0:119+0], v[vgprValuB_X3_I0+6+0+0:vgprValuB_X3_I0+6+0+0+1], v[vgprValuA_X3_I0+10+0+0:vgprValuA_X3_I0+10+0+0+1], a[116:119]
/*  mfmaIndex:219  */
v_mfma_f32_16x16x32_bf8_fp8 a[112+0:115+0], v[vgprValuB_X3_I0+6+0+0:vgprValuB_X3_I0+6+0+0+1], v[vgprValuA_X3_I0+8+0+0:vgprValuA_X3_I0+8+0+0+1], a[112:115]
/*  mfmaIndex:220  */
	;; [unrolled: 2-line block ×10, first 2 shown]
/* sched write - iter 3 writesPerItem=1 */
s_waitcnt vmcnt(0)                                 // lgkmcnt=-1 vmcnt=0wait for global read before writing to local
_ds_store_b128 v[vgprLocalWriteAddrB], v[vgprG2LB+28:vgprG2LB+28+3] offset:7168 // lwoB_0_0_7_0 = (0*LSCB) + (7*LSPB)(*MT1J+PAD) = 7168
v_mfma_f32_16x16x32_bf8_fp8 a[144+0:147+0], v[vgprValuB_X3_I0+8+0+0:vgprValuB_X3_I0+8+0+0+1], v[vgprValuA_X3_I0+8+0+0:vgprValuA_X3_I0+8+0+0+1], a[144:147]
/*  mfmaIndex:229  */
_buffer_load_b128 v[vgprG2LB+28:vgprG2LB+28+3], v[vgprGlobalReadOffsetB+0], s[sgprSrdB:sgprSrdB+3], s[sgprScalarGlobalReadOffsetB+6], offen offset:0 // G -> Reg 0_0_7_0

/* local write swap offsets a */

/* local write swap offsets b */
v_mfma_f32_16x16x32_bf8_fp8 a[148+0:151+0], v[vgprValuB_X3_I0+8+0+0:vgprValuB_X3_I0+8+0+0+1], v[vgprValuA_X3_I0+10+0+0:vgprValuA_X3_I0+10+0+0+1], a[148:151]
/*  mfmaIndex:230  */
v_mfma_f32_16x16x32_bf8_fp8 a[152+0:155+0], v[vgprValuB_X3_I0+8+0+0:vgprValuB_X3_I0+8+0+0+1], v[vgprValuA_X3_I0+12+0+0:vgprValuA_X3_I0+12+0+0+1], a[152:155]
/*  mfmaIndex:231  */
	;; [unrolled: 2-line block ×4, first 2 shown]
v_mfma_f32_16x16x32_bf8_fp8 a[184+0:187+0], v[vgprValuB_X3_I0+10+0+0:vgprValuB_X3_I0+10+0+0+1], v[vgprValuA_X3_I0+12+0+0:vgprValuA_X3_I0+12+0+0+1], a[184:187]
s_setprio 0                                        // store optimization
/*  mfmaIndex:234  */
s_waitcnt lgkmcnt(0)                               // lgkmcnt=0 vmcnt=-13wait for local write
// Skip force waitcnt0
s_barrier //
v_mfma_f32_16x16x32_bf8_fp8 a[180+0:183+0], v[vgprValuB_X3_I0+10+0+0:vgprValuB_X3_I0+10+0+0+1], v[vgprValuA_X3_I0+10+0+0:vgprValuA_X3_I0+10+0+0+1], a[180:183]
/*  mfmaIndex:235  */
s_setprio 3                                        // store optimization
_ds_load_b64 v[vgprValuA_X0_I0_D0+0:vgprValuA_X0_I0_D0+0+1], v[vgprLocalReadAddrA] offset:0 // L -> Reg lro=0 swapByteOffset=0 ti=256 vIdx=0 rIdx=0 oIdx=0 buffer=0 iui=0
v_mfma_f32_16x16x32_bf8_fp8 a[176+0:179+0], v[vgprValuB_X3_I0+10+0+0:vgprValuB_X3_I0+10+0+0+1], v[vgprValuA_X3_I0+8+0+0:vgprValuA_X3_I0+8+0+0+1], a[176:179]
/*  mfmaIndex:236  */
_ds_load_b64 v[vgprValuA_X0_I0_D1+0:vgprValuA_X0_I0_D1+0+1], v[vgprLocalReadAddrA] offset:256 // L -> Reg lro=0 swapByteOffset=0 ti=256 vIdx=0 rIdx=1 oIdx=0 buffer=0 iui=0
v_mfma_f32_16x16x32_bf8_fp8 a[172+0:175+0], v[vgprValuB_X3_I0+10+0+0:vgprValuB_X3_I0+10+0+0+1], v[vgprValuA_X3_I0+6+0+0:vgprValuA_X3_I0+6+0+0+1], a[172:175]
/*  mfmaIndex:237  */
_ds_load_b64 v[vgprValuA_X0_I0_D2+0:vgprValuA_X0_I0_D2+0+1], v[vgprLocalReadAddrA] offset:512 // L -> Reg lro=0 swapByteOffset=0 ti=256 vIdx=0 rIdx=2 oIdx=0 buffer=0 iui=0
v_mfma_f32_16x16x32_bf8_fp8 a[168+0:171+0], v[vgprValuB_X3_I0+10+0+0:vgprValuB_X3_I0+10+0+0+1], v[vgprValuA_X3_I0+4+0+0:vgprValuA_X3_I0+4+0+0+1], a[168:171]
/*  mfmaIndex:238  */
_ds_load_b64 v[vgprValuA_X0_I0_D3+0:vgprValuA_X0_I0_D3+0+1], v[vgprLocalReadAddrA] offset:768 // L -> Reg lro=0 swapByteOffset=0 ti=256 vIdx=0 rIdx=3 oIdx=0 buffer=0 iui=0
v_mfma_f32_16x16x32_bf8_fp8 a[164+0:167+0], v[vgprValuB_X3_I0+10+0+0:vgprValuB_X3_I0+10+0+0+1], v[vgprValuA_X3_I0+2+0+0:vgprValuA_X3_I0+2+0+0+1], a[164:167]
/*  mfmaIndex:239  */
_ds_load_b64 v[vgprValuA_X0_I0_D4+0:vgprValuA_X0_I0_D4+0+1], v[vgprLocalReadAddrA] offset:1024 // L -> Reg lro=0 swapByteOffset=0 ti=256 vIdx=0 rIdx=4 oIdx=0 buffer=0 iui=0
v_mfma_f32_16x16x32_bf8_fp8 a[160+0:163+0], v[vgprValuB_X3_I0+10+0+0:vgprValuB_X3_I0+10+0+0+1], v[vgprValuA_X3_I0+0+0+0:vgprValuA_X3_I0+0+0+0+1], a[160:163]
/*  mfmaIndex:240  */
_ds_load_b64 v[vgprValuA_X0_I0_D5+0:vgprValuA_X0_I0_D5+0+1], v[vgprLocalReadAddrA] offset:1280 // L -> Reg lro=0 swapByteOffset=0 ti=256 vIdx=0 rIdx=5 oIdx=0 buffer=0 iui=0
v_mfma_f32_16x16x32_bf8_fp8 a[192+0:195+0], v[vgprValuB_X3_I0+12+0+0:vgprValuB_X3_I0+12+0+0+1], v[vgprValuA_X3_I0+0+0+0:vgprValuA_X3_I0+0+0+0+1], a[192:195]
/*  mfmaIndex:241  */
_ds_load_b64 v[vgprValuA_X0_I0_D6+0:vgprValuA_X0_I0_D6+0+1], v[vgprLocalReadAddrA] offset:1536 // L -> Reg lro=0 swapByteOffset=0 ti=256 vIdx=0 rIdx=6 oIdx=0 buffer=0 iui=0
v_mfma_f32_16x16x32_bf8_fp8 a[196+0:199+0], v[vgprValuB_X3_I0+12+0+0:vgprValuB_X3_I0+12+0+0+1], v[vgprValuA_X3_I0+2+0+0:vgprValuA_X3_I0+2+0+0+1], a[196:199]
/*  mfmaIndex:242  */
_ds_load_b64 v[vgprValuA_X0_I0_D7+0:vgprValuA_X0_I0_D7+0+1], v[vgprLocalReadAddrA] offset:1792 // L -> Reg lro=0 swapByteOffset=0 ti=256 vIdx=0 rIdx=7 oIdx=0 buffer=0 iui=0
v_mfma_f32_16x16x32_bf8_fp8 a[200+0:203+0], v[vgprValuB_X3_I0+12+0+0:vgprValuB_X3_I0+12+0+0+1], v[vgprValuA_X3_I0+4+0+0:vgprValuA_X3_I0+4+0+0+1], a[200:203]
/*  mfmaIndex:243  */
_ds_load_b64 v[vgprValuB_X0_I0_D0+0:vgprValuB_X0_I0_D0+0+1], v[vgprLocalReadAddrB] offset:0 // L -> Reg lro=0 swapByteOffset=0 ti=256 vIdx=0 rIdx=0 oIdx=0 buffer=0 iui=0
v_mfma_f32_16x16x32_bf8_fp8 a[204+0:207+0], v[vgprValuB_X3_I0+12+0+0:vgprValuB_X3_I0+12+0+0+1], v[vgprValuA_X3_I0+6+0+0:vgprValuA_X3_I0+6+0+0+1], a[204:207]
/*  mfmaIndex:244  */
_ds_load_b64 v[vgprValuB_X0_I0_D1+0:vgprValuB_X0_I0_D1+0+1], v[vgprLocalReadAddrB] offset:256 // L -> Reg lro=0 swapByteOffset=0 ti=256 vIdx=0 rIdx=1 oIdx=0 buffer=0 iui=0
v_mfma_f32_16x16x32_bf8_fp8 a[208+0:211+0], v[vgprValuB_X3_I0+12+0+0:vgprValuB_X3_I0+12+0+0+1], v[vgprValuA_X3_I0+8+0+0:vgprValuA_X3_I0+8+0+0+1], a[208:211]
/*  mfmaIndex:245  */
_ds_load_b64 v[vgprValuB_X0_I0_D2+0:vgprValuB_X0_I0_D2+0+1], v[vgprLocalReadAddrB] offset:512 // L -> Reg lro=0 swapByteOffset=0 ti=256 vIdx=0 rIdx=2 oIdx=0 buffer=0 iui=0
v_mfma_f32_16x16x32_bf8_fp8 a[212+0:215+0], v[vgprValuB_X3_I0+12+0+0:vgprValuB_X3_I0+12+0+0+1], v[vgprValuA_X3_I0+10+0+0:vgprValuA_X3_I0+10+0+0+1], a[212:215]
/*  mfmaIndex:246  */
_ds_load_b64 v[vgprValuB_X0_I0_D3+0:vgprValuB_X0_I0_D3+0+1], v[vgprLocalReadAddrB] offset:768 // L -> Reg lro=0 swapByteOffset=0 ti=256 vIdx=0 rIdx=3 oIdx=0 buffer=0 iui=0
v_mfma_f32_16x16x32_bf8_fp8 a[216+0:219+0], v[vgprValuB_X3_I0+12+0+0:vgprValuB_X3_I0+12+0+0+1], v[vgprValuA_X3_I0+12+0+0:vgprValuA_X3_I0+12+0+0+1], a[216:219]
/*  mfmaIndex:247  */
_ds_load_b64 v[vgprValuB_X0_I0_D4+0:vgprValuB_X0_I0_D4+0+1], v[vgprLocalReadAddrB] offset:1024 // L -> Reg lro=0 swapByteOffset=0 ti=256 vIdx=0 rIdx=4 oIdx=0 buffer=0 iui=0
v_mfma_f32_16x16x32_bf8_fp8 a[220+0:223+0], v[vgprValuB_X3_I0+12+0+0:vgprValuB_X3_I0+12+0+0+1], v[vgprValuA_X3_I0+14+0+0:vgprValuA_X3_I0+14+0+0+1], a[220:223]
/*  mfmaIndex:248  */
_ds_load_b64 v[vgprValuB_X0_I0_D5+0:vgprValuB_X0_I0_D5+0+1], v[vgprLocalReadAddrB] offset:1280 // L -> Reg lro=0 swapByteOffset=0 ti=256 vIdx=0 rIdx=5 oIdx=0 buffer=0 iui=0
v_mfma_f32_16x16x32_bf8_fp8 a[252+0:255+0], v[vgprValuB_X3_I0+14+0+0:vgprValuB_X3_I0+14+0+0+1], v[vgprValuA_X3_I0+14+0+0:vgprValuA_X3_I0+14+0+0+1], a[252:255]
/*  mfmaIndex:249  */
_ds_load_b64 v[vgprValuB_X0_I0_D6+0:vgprValuB_X0_I0_D6+0+1], v[vgprLocalReadAddrB] offset:1536 // L -> Reg lro=0 swapByteOffset=0 ti=256 vIdx=0 rIdx=6 oIdx=0 buffer=0 iui=0
v_mfma_f32_16x16x32_bf8_fp8 a[248+0:251+0], v[vgprValuB_X3_I0+14+0+0:vgprValuB_X3_I0+14+0+0+1], v[vgprValuA_X3_I0+12+0+0:vgprValuA_X3_I0+12+0+0+1], a[248:251]
/*  mfmaIndex:250  */
_ds_load_b64 v[vgprValuB_X0_I0_D7+0:vgprValuB_X0_I0_D7+0+1], v[vgprLocalReadAddrB] offset:1792 // L -> Reg lro=0 swapByteOffset=0 ti=256 vIdx=0 rIdx=7 oIdx=0 buffer=0 iui=0
v_mfma_f32_16x16x32_bf8_fp8 a[244+0:247+0], v[vgprValuB_X3_I0+14+0+0:vgprValuB_X3_I0+14+0+0+1], v[vgprValuA_X3_I0+10+0+0:vgprValuA_X3_I0+10+0+0+1], a[244:247]
/*  mfmaIndex:251  */
v_mfma_f32_16x16x32_bf8_fp8 a[240+0:243+0], v[vgprValuB_X3_I0+14+0+0:vgprValuB_X3_I0+14+0+0+1], v[vgprValuA_X3_I0+8+0+0:vgprValuA_X3_I0+8+0+0+1], a[240:243]
/*  mfmaIndex:252  */
	;; [unrolled: 2-line block ×5, first 2 shown]
v_mfma_f32_16x16x32_bf8_fp8 a[224+0:227+0], v[vgprValuB_X3_I0+14+0+0:vgprValuB_X3_I0+14+0+0+1], v[vgprValuA_X3_I0+0+0+0:vgprValuA_X3_I0+0+0+0+1], a[224:227]
s_setprio 0                                        // store optimization


/******************************************/
/* Unrolled Loop - End 1/2                */
/******************************************/


/* closeLoop loopL finalLoop=0 tailLoop=0 */
s_sub_u32 s[sgprLoopCounterL], s[sgprLoopCounterL], 1 // dec counterL
s_cmp_eq_i32 s[sgprLoopCounterL], 0x2              // counterL==2
s_cbranch_scc1 LoopEndL_oddexit_3                  // exit LoopL


/******************************************/
/* Unrolled Loop 2/2 - Begin              */
/******************************************/

label_0016: // LoopCopy2 


/* Begin Each Unroll: Check VGPR.checkin for INT8 LW */


	;; [unrolled: 1-line block ×3, first 2 shown]
/* iter 0 */

/*  grEndMfmaIndex:12, lwStartMfmaIndex:62, lwEndMfmaIndex:229  */
/*  numMfmaForLR:21, barrierMfmaIndex:234, LocalWritePerMfma:0.090 */
/*  mfmaIndex:0  */
s_waitcnt lgkmcnt(0)                               // lgkmcnt=0 vmcnt=-1wait for prior local read local write old=0, new=0 newLW=0 newLR=0
/* pack scheduling: packAIdx:6, packBIdx:6 */
v_perm_b32 v[vgprValuA_X0_I0+0], v[vgprValuA_X0_I0_D1+0], v[vgprValuA_X0_I0_D0+0], s[sgprPackKForV0] // select K=01 for vector=0
v_perm_b32 v[vgprPackTemp], v[vgprValuA_X0_I0_D3+0], v[vgprValuA_X0_I0_D2+0], s[sgprPackKForV0] // select K=23 for vector=0
_v_lshl_or_b32 v[vgprValuA_X0_I0+0], v[vgprPackTemp], 0x10, v[vgprValuA_X0_I0+0] // pack two half Vgpr to one Vgpr
v_perm_b32 v[vgprValuA_X0_I0+1], v[vgprValuA_X0_I0_D5+0], v[vgprValuA_X0_I0_D4+0], s[sgprPackKForV0] // select K=45 for vector=0
v_perm_b32 v[vgprPackTemp], v[vgprValuA_X0_I0_D7+0], v[vgprValuA_X0_I0_D6+0], s[sgprPackKForV0] // select K=67 for vector=0
_v_lshl_or_b32 v[vgprValuA_X0_I0+1], v[vgprPackTemp], 0x10, v[vgprValuA_X0_I0+1] // pack two half Vgpr to one Vgpr
v_perm_b32 v[vgprValuB_X0_I0+0], v[vgprValuB_X0_I0_D1+0], v[vgprValuB_X0_I0_D0+0], s[sgprPackKForV0] // select K=01 for vector=0
v_perm_b32 v[vgprPackTemp], v[vgprValuB_X0_I0_D3+0], v[vgprValuB_X0_I0_D2+0], s[sgprPackKForV0] // select K=23 for vector=0
_v_lshl_or_b32 v[vgprValuB_X0_I0+0], v[vgprPackTemp], 0x10, v[vgprValuB_X0_I0+0] // pack two half Vgpr to one Vgpr
v_perm_b32 v[vgprValuB_X0_I0+1], v[vgprValuB_X0_I0_D5+0], v[vgprValuB_X0_I0_D4+0], s[sgprPackKForV0] // select K=45 for vector=0
v_perm_b32 v[vgprPackTemp], v[vgprValuB_X0_I0_D7+0], v[vgprValuB_X0_I0_D6+0], s[sgprPackKForV0] // select K=67 for vector=0
_v_lshl_or_b32 v[vgprValuB_X0_I0+1], v[vgprPackTemp], 0x10, v[vgprValuB_X0_I0+1] // pack two half Vgpr to one Vgpr
v_perm_b32 v[vgprValuA_X0_I0+2], v[vgprValuA_X0_I0_D1+0], v[vgprValuA_X0_I0_D0+0], s[sgprPackKForV1] // select K=01 for vector=1
v_perm_b32 v[vgprPackTemp], v[vgprValuA_X0_I0_D3+0], v[vgprValuA_X0_I0_D2+0], s[sgprPackKForV1] // select K=23 for vector=1
_v_lshl_or_b32 v[vgprValuA_X0_I0+2], v[vgprPackTemp], 0x10, v[vgprValuA_X0_I0+2] // pack two half Vgpr to one Vgpr
v_perm_b32 v[vgprValuA_X0_I0+3], v[vgprValuA_X0_I0_D5+0], v[vgprValuA_X0_I0_D4+0], s[sgprPackKForV1] // select K=45 for vector=1
v_perm_b32 v[vgprPackTemp], v[vgprValuA_X0_I0_D7+0], v[vgprValuA_X0_I0_D6+0], s[sgprPackKForV1] // select K=67 for vector=1
_v_lshl_or_b32 v[vgprValuA_X0_I0+3], v[vgprPackTemp], 0x10, v[vgprValuA_X0_I0+3] // pack two half Vgpr to one Vgpr
v_mfma_f32_16x16x32_bf8_fp8 a[0+0:3+0], v[vgprValuB_X0_I0+0+0+0:vgprValuB_X0_I0+0+0+0+1], v[vgprValuA_X0_I0+0+0+0:vgprValuA_X0_I0+0+0+0+1], a[0:3]
/*  mfmaIndex:1  */
_ds_load_b64 v[vgprValuA_X1_I0_D0+0:vgprValuA_X1_I0_D0+0+1], v[vgprLocalReadAddrA] offset:8192 // L -> Reg lro=8192 swapByteOffset=0 ti=256 vIdx=0 rIdx=0 oIdx=0 buffer=1 iui=0

/* global read inc A loopL */
s_add_u32 s[sgprSrdA+0], s[sgprSrdA+0], s[sgprGlobalReadIncsA+0] // gra SRD += inc(lower)
/* pack scheduling: packAIdx:12, packBIdx:6 */
v_perm_b32 v[vgprValuA_X0_I0+4], v[vgprValuA_X0_I0_D1+0], v[vgprValuA_X0_I0_D0+0], s[sgprPackKForV2] // select K=01 for vector=2
v_perm_b32 v[vgprPackTemp], v[vgprValuA_X0_I0_D3+0], v[vgprValuA_X0_I0_D2+0], s[sgprPackKForV2] // select K=23 for vector=2
_v_lshl_or_b32 v[vgprValuA_X0_I0+4], v[vgprPackTemp], 0x10, v[vgprValuA_X0_I0+4] // pack two half Vgpr to one Vgpr
v_perm_b32 v[vgprValuA_X0_I0+5], v[vgprValuA_X0_I0_D5+0], v[vgprValuA_X0_I0_D4+0], s[sgprPackKForV2] // select K=45 for vector=2
v_perm_b32 v[vgprPackTemp], v[vgprValuA_X0_I0_D7+0], v[vgprValuA_X0_I0_D6+0], s[sgprPackKForV2] // select K=67 for vector=2
_v_lshl_or_b32 v[vgprValuA_X0_I0+5], v[vgprPackTemp], 0x10, v[vgprValuA_X0_I0+5] // pack two half Vgpr to one Vgpr
v_mfma_f32_16x16x32_bf8_fp8 a[4+0:7+0], v[vgprValuB_X0_I0+0+0+0:vgprValuB_X0_I0+0+0+0+1], v[vgprValuA_X0_I0+2+0+0:vgprValuA_X0_I0+2+0+0+1], a[4:7]
/*  mfmaIndex:2  */
_ds_load_b64 v[vgprValuA_X1_I0_D1+0:vgprValuA_X1_I0_D1+0+1], v[vgprLocalReadAddrA] offset:8448 // L -> Reg lro=8192 swapByteOffset=0 ti=256 vIdx=0 rIdx=1 oIdx=0 buffer=1 iui=0
s_addc_u32  s[sgprSrdA+1], s[sgprSrdA+1], 0        // gra SRD += inc(upper)
/* pack scheduling: packAIdx:18, packBIdx:6 */
v_perm_b32 v[vgprValuA_X0_I0+6], v[vgprValuA_X0_I0_D1+0], v[vgprValuA_X0_I0_D0+0], s[sgprPackKForV3] // select K=01 for vector=3
v_perm_b32 v[vgprPackTemp], v[vgprValuA_X0_I0_D3+0], v[vgprValuA_X0_I0_D2+0], s[sgprPackKForV3] // select K=23 for vector=3
_v_lshl_or_b32 v[vgprValuA_X0_I0+6], v[vgprPackTemp], 0x10, v[vgprValuA_X0_I0+6] // pack two half Vgpr to one Vgpr
v_perm_b32 v[vgprValuA_X0_I0+7], v[vgprValuA_X0_I0_D5+0], v[vgprValuA_X0_I0_D4+0], s[sgprPackKForV3] // select K=45 for vector=3
v_perm_b32 v[vgprPackTemp], v[vgprValuA_X0_I0_D7+0], v[vgprValuA_X0_I0_D6+0], s[sgprPackKForV3] // select K=67 for vector=3
_v_lshl_or_b32 v[vgprValuA_X0_I0+7], v[vgprPackTemp], 0x10, v[vgprValuA_X0_I0+7] // pack two half Vgpr to one Vgpr
v_mfma_f32_16x16x32_bf8_fp8 a[8+0:11+0], v[vgprValuB_X0_I0+0+0+0:vgprValuB_X0_I0+0+0+0+1], v[vgprValuA_X0_I0+4+0+0:vgprValuA_X0_I0+4+0+0+1], a[8:11]
/*  mfmaIndex:3  */
_ds_load_b64 v[vgprValuA_X1_I0_D2+0:vgprValuA_X1_I0_D2+0+1], v[vgprLocalReadAddrA] offset:8704 // L -> Reg lro=8192 swapByteOffset=0 ti=256 vIdx=0 rIdx=2 oIdx=0 buffer=1 iui=0
s_sub_u32 s[sgprShadowLimitA+0], s[sgprShadowLimitA+0], s[sgprGlobalReadIncsA+0] // limit -= inc)
/* pack scheduling: packAIdx:24, packBIdx:6 */
v_perm_b32 v[vgprValuA_X0_I0+8], v[vgprValuA_X0_I0_D1+1], v[vgprValuA_X0_I0_D0+1], s[sgprPackKForV0] // select K=01 for vector=0
v_perm_b32 v[vgprPackTemp], v[vgprValuA_X0_I0_D3+1], v[vgprValuA_X0_I0_D2+1], s[sgprPackKForV0] // select K=23 for vector=0
_v_lshl_or_b32 v[vgprValuA_X0_I0+8], v[vgprPackTemp], 0x10, v[vgprValuA_X0_I0+8] // pack two half Vgpr to one Vgpr
v_perm_b32 v[vgprValuA_X0_I0+9], v[vgprValuA_X0_I0_D5+1], v[vgprValuA_X0_I0_D4+1], s[sgprPackKForV0] // select K=45 for vector=0
v_perm_b32 v[vgprPackTemp], v[vgprValuA_X0_I0_D7+1], v[vgprValuA_X0_I0_D6+1], s[sgprPackKForV0] // select K=67 for vector=0
_v_lshl_or_b32 v[vgprValuA_X0_I0+9], v[vgprPackTemp], 0x10, v[vgprValuA_X0_I0+9] // pack two half Vgpr to one Vgpr
v_mfma_f32_16x16x32_bf8_fp8 a[12+0:15+0], v[vgprValuB_X0_I0+0+0+0:vgprValuB_X0_I0+0+0+0+1], v[vgprValuA_X0_I0+6+0+0:vgprValuA_X0_I0+6+0+0+1], a[12:15]
/*  mfmaIndex:4  */
_ds_load_b64 v[vgprValuA_X1_I0_D3+0:vgprValuA_X1_I0_D3+0+1], v[vgprLocalReadAddrA] offset:8960 // L -> Reg lro=8192 swapByteOffset=0 ti=256 vIdx=0 rIdx=3 oIdx=0 buffer=1 iui=0
s_subb_u32 s[sgprShadowLimitA+1], s[sgprShadowLimitA+1], 0 // limit -= inc)
/* pack scheduling: packAIdx:30, packBIdx:6 */
v_perm_b32 v[vgprValuA_X0_I0+10], v[vgprValuA_X0_I0_D1+1], v[vgprValuA_X0_I0_D0+1], s[sgprPackKForV1] // select K=01 for vector=1
v_perm_b32 v[vgprPackTemp], v[vgprValuA_X0_I0_D3+1], v[vgprValuA_X0_I0_D2+1], s[sgprPackKForV1] // select K=23 for vector=1
_v_lshl_or_b32 v[vgprValuA_X0_I0+10], v[vgprPackTemp], 0x10, v[vgprValuA_X0_I0+10] // pack two half Vgpr to one Vgpr
v_perm_b32 v[vgprValuA_X0_I0+11], v[vgprValuA_X0_I0_D5+1], v[vgprValuA_X0_I0_D4+1], s[sgprPackKForV1] // select K=45 for vector=1
v_perm_b32 v[vgprPackTemp], v[vgprValuA_X0_I0_D7+1], v[vgprValuA_X0_I0_D6+1], s[sgprPackKForV1] // select K=67 for vector=1
_v_lshl_or_b32 v[vgprValuA_X0_I0+11], v[vgprPackTemp], 0x10, v[vgprValuA_X0_I0+11] // pack two half Vgpr to one Vgpr
v_mfma_f32_16x16x32_bf8_fp8 a[16+0:19+0], v[vgprValuB_X0_I0+0+0+0:vgprValuB_X0_I0+0+0+0+1], v[vgprValuA_X0_I0+8+0+0:vgprValuA_X0_I0+8+0+0+1], a[16:19]
/*  mfmaIndex:5  */
_ds_load_b64 v[vgprValuA_X1_I0_D4+0:vgprValuA_X1_I0_D4+0+1], v[vgprLocalReadAddrA] offset:9216 // L -> Reg lro=8192 swapByteOffset=0 ti=256 vIdx=0 rIdx=4 oIdx=0 buffer=1 iui=0
s_cmp_eq_u32 s[sgprShadowLimitA+1], 0              // are we within 2^32?
/* pack scheduling: packAIdx:36, packBIdx:6 */
v_perm_b32 v[vgprValuA_X0_I0+12], v[vgprValuA_X0_I0_D1+1], v[vgprValuA_X0_I0_D0+1], s[sgprPackKForV2] // select K=01 for vector=2
v_perm_b32 v[vgprPackTemp], v[vgprValuA_X0_I0_D3+1], v[vgprValuA_X0_I0_D2+1], s[sgprPackKForV2] // select K=23 for vector=2
_v_lshl_or_b32 v[vgprValuA_X0_I0+12], v[vgprPackTemp], 0x10, v[vgprValuA_X0_I0+12] // pack two half Vgpr to one Vgpr
v_perm_b32 v[vgprValuA_X0_I0+13], v[vgprValuA_X0_I0_D5+1], v[vgprValuA_X0_I0_D4+1], s[sgprPackKForV2] // select K=45 for vector=2
v_perm_b32 v[vgprPackTemp], v[vgprValuA_X0_I0_D7+1], v[vgprValuA_X0_I0_D6+1], s[sgprPackKForV2] // select K=67 for vector=2
_v_lshl_or_b32 v[vgprValuA_X0_I0+13], v[vgprPackTemp], 0x10, v[vgprValuA_X0_I0+13] // pack two half Vgpr to one Vgpr
v_mfma_f32_16x16x32_bf8_fp8 a[20+0:23+0], v[vgprValuB_X0_I0+0+0+0:vgprValuB_X0_I0+0+0+0+1], v[vgprValuA_X0_I0+10+0+0:vgprValuA_X0_I0+10+0+0+1], a[20:23]
/*  mfmaIndex:6  */
_ds_load_b64 v[vgprValuA_X1_I0_D5+0:vgprValuA_X1_I0_D5+0+1], v[vgprLocalReadAddrA] offset:9472 // L -> Reg lro=8192 swapByteOffset=0 ti=256 vIdx=0 rIdx=5 oIdx=0 buffer=1 iui=0
s_cmov_b32 s[sgprSrdA+2], s[sgprShadowLimitA+0]    // Move shadow to real if we are within 2^32
/* pack scheduling: packAIdx:42, packBIdx:6 */
v_perm_b32 v[vgprValuA_X0_I0+14], v[vgprValuA_X0_I0_D1+1], v[vgprValuA_X0_I0_D0+1], s[sgprPackKForV3] // select K=01 for vector=3
v_perm_b32 v[vgprPackTemp], v[vgprValuA_X0_I0_D3+1], v[vgprValuA_X0_I0_D2+1], s[sgprPackKForV3] // select K=23 for vector=3
_v_lshl_or_b32 v[vgprValuA_X0_I0+14], v[vgprPackTemp], 0x10, v[vgprValuA_X0_I0+14] // pack two half Vgpr to one Vgpr
v_perm_b32 v[vgprValuA_X0_I0+15], v[vgprValuA_X0_I0_D5+1], v[vgprValuA_X0_I0_D4+1], s[sgprPackKForV3] // select K=45 for vector=3
v_perm_b32 v[vgprPackTemp], v[vgprValuA_X0_I0_D7+1], v[vgprValuA_X0_I0_D6+1], s[sgprPackKForV3] // select K=67 for vector=3
_v_lshl_or_b32 v[vgprValuA_X0_I0+15], v[vgprPackTemp], 0x10, v[vgprValuA_X0_I0+15] // pack two half Vgpr to one Vgpr
v_mfma_f32_16x16x32_bf8_fp8 a[24+0:27+0], v[vgprValuB_X0_I0+0+0+0:vgprValuB_X0_I0+0+0+0+1], v[vgprValuA_X0_I0+12+0+0:vgprValuA_X0_I0+12+0+0+1], a[24:27]
/*  mfmaIndex:7  */
_ds_load_b64 v[vgprValuA_X1_I0_D6+0:vgprValuA_X1_I0_D6+0+1], v[vgprLocalReadAddrA] offset:9728 // L -> Reg lro=8192 swapByteOffset=0 ti=256 vIdx=0 rIdx=6 oIdx=0 buffer=1 iui=0

/* global read inc B loopL */
s_add_u32 s[sgprSrdB+0], s[sgprSrdB+0], s[sgprGlobalReadIncsB+0] // gra SRD += inc(lower)
/* pack scheduling: packAIdx:48, packBIdx:6 */
v_perm_b32 v[vgprValuB_X0_I0+2], v[vgprValuB_X0_I0_D1+0], v[vgprValuB_X0_I0_D0+0], s[sgprPackKForV1] // select K=01 for vector=1
v_perm_b32 v[vgprPackTemp], v[vgprValuB_X0_I0_D3+0], v[vgprValuB_X0_I0_D2+0], s[sgprPackKForV1] // select K=23 for vector=1
_v_lshl_or_b32 v[vgprValuB_X0_I0+2], v[vgprPackTemp], 0x10, v[vgprValuB_X0_I0+2] // pack two half Vgpr to one Vgpr
v_perm_b32 v[vgprValuB_X0_I0+3], v[vgprValuB_X0_I0_D5+0], v[vgprValuB_X0_I0_D4+0], s[sgprPackKForV1] // select K=45 for vector=1
v_perm_b32 v[vgprPackTemp], v[vgprValuB_X0_I0_D7+0], v[vgprValuB_X0_I0_D6+0], s[sgprPackKForV1] // select K=67 for vector=1
_v_lshl_or_b32 v[vgprValuB_X0_I0+3], v[vgprPackTemp], 0x10, v[vgprValuB_X0_I0+3] // pack two half Vgpr to one Vgpr
v_mfma_f32_16x16x32_bf8_fp8 a[28+0:31+0], v[vgprValuB_X0_I0+0+0+0:vgprValuB_X0_I0+0+0+0+1], v[vgprValuA_X0_I0+14+0+0:vgprValuA_X0_I0+14+0+0+1], a[28:31]
/*  mfmaIndex:8  */
_ds_load_b64 v[vgprValuA_X1_I0_D7+0:vgprValuA_X1_I0_D7+0+1], v[vgprLocalReadAddrA] offset:9984 // L -> Reg lro=8192 swapByteOffset=0 ti=256 vIdx=0 rIdx=7 oIdx=0 buffer=1 iui=0
s_addc_u32  s[sgprSrdB+1], s[sgprSrdB+1], 0        // gra SRD += inc(upper)
/* pack scheduling: packAIdx:48, packBIdx:12 */
v_perm_b32 v[vgprValuB_X0_I0+4], v[vgprValuB_X0_I0_D1+0], v[vgprValuB_X0_I0_D0+0], s[sgprPackKForV2] // select K=01 for vector=2
v_perm_b32 v[vgprPackTemp], v[vgprValuB_X0_I0_D3+0], v[vgprValuB_X0_I0_D2+0], s[sgprPackKForV2] // select K=23 for vector=2
_v_lshl_or_b32 v[vgprValuB_X0_I0+4], v[vgprPackTemp], 0x10, v[vgprValuB_X0_I0+4] // pack two half Vgpr to one Vgpr
v_perm_b32 v[vgprValuB_X0_I0+5], v[vgprValuB_X0_I0_D5+0], v[vgprValuB_X0_I0_D4+0], s[sgprPackKForV2] // select K=45 for vector=2
v_perm_b32 v[vgprPackTemp], v[vgprValuB_X0_I0_D7+0], v[vgprValuB_X0_I0_D6+0], s[sgprPackKForV2] // select K=67 for vector=2
_v_lshl_or_b32 v[vgprValuB_X0_I0+5], v[vgprPackTemp], 0x10, v[vgprValuB_X0_I0+5] // pack two half Vgpr to one Vgpr
v_mfma_f32_16x16x32_bf8_fp8 a[60+0:63+0], v[vgprValuB_X0_I0+2+0+0:vgprValuB_X0_I0+2+0+0+1], v[vgprValuA_X0_I0+14+0+0:vgprValuA_X0_I0+14+0+0+1], a[60:63]
/*  mfmaIndex:9  */
_ds_load_b64 v[vgprValuB_X1_I0_D0+0:vgprValuB_X1_I0_D0+0+1], v[vgprLocalReadAddrB] offset:8192 // L -> Reg lro=8192 swapByteOffset=0 ti=256 vIdx=0 rIdx=0 oIdx=0 buffer=1 iui=0
s_sub_u32 s[sgprShadowLimitB+0], s[sgprShadowLimitB+0], s[sgprGlobalReadIncsB+0] // limit -= inc)
/* pack scheduling: packAIdx:48, packBIdx:12 */
v_perm_b32 v[vgprValuB_X0_I0+6], v[vgprValuB_X0_I0_D1+0], v[vgprValuB_X0_I0_D0+0], s[sgprPackKForV3] // select K=01 for vector=3
v_perm_b32 v[vgprPackTemp], v[vgprValuB_X0_I0_D3+0], v[vgprValuB_X0_I0_D2+0], s[sgprPackKForV3] // select K=23 for vector=3
_v_lshl_or_b32 v[vgprValuB_X0_I0+6], v[vgprPackTemp], 0x10, v[vgprValuB_X0_I0+6] // pack two half Vgpr to one Vgpr
v_perm_b32 v[vgprValuB_X0_I0+7], v[vgprValuB_X0_I0_D5+0], v[vgprValuB_X0_I0_D4+0], s[sgprPackKForV3] // select K=45 for vector=3
v_perm_b32 v[vgprPackTemp], v[vgprValuB_X0_I0_D7+0], v[vgprValuB_X0_I0_D6+0], s[sgprPackKForV3] // select K=67 for vector=3
_v_lshl_or_b32 v[vgprValuB_X0_I0+7], v[vgprPackTemp], 0x10, v[vgprValuB_X0_I0+7] // pack two half Vgpr to one Vgpr
v_mfma_f32_16x16x32_bf8_fp8 a[56+0:59+0], v[vgprValuB_X0_I0+2+0+0:vgprValuB_X0_I0+2+0+0+1], v[vgprValuA_X0_I0+12+0+0:vgprValuA_X0_I0+12+0+0+1], a[56:59]
/*  mfmaIndex:10  */
_ds_load_b64 v[vgprValuB_X1_I0_D1+0:vgprValuB_X1_I0_D1+0+1], v[vgprLocalReadAddrB] offset:8448 // L -> Reg lro=8192 swapByteOffset=0 ti=256 vIdx=0 rIdx=1 oIdx=0 buffer=1 iui=0
s_subb_u32 s[sgprShadowLimitB+1], s[sgprShadowLimitB+1], 0 // limit -= inc)
/* pack scheduling: packAIdx:48, packBIdx:12 */
v_perm_b32 v[vgprValuB_X0_I0+8], v[vgprValuB_X0_I0_D1+1], v[vgprValuB_X0_I0_D0+1], s[sgprPackKForV0] // select K=01 for vector=0
v_perm_b32 v[vgprPackTemp], v[vgprValuB_X0_I0_D3+1], v[vgprValuB_X0_I0_D2+1], s[sgprPackKForV0] // select K=23 for vector=0
_v_lshl_or_b32 v[vgprValuB_X0_I0+8], v[vgprPackTemp], 0x10, v[vgprValuB_X0_I0+8] // pack two half Vgpr to one Vgpr
v_perm_b32 v[vgprValuB_X0_I0+9], v[vgprValuB_X0_I0_D5+1], v[vgprValuB_X0_I0_D4+1], s[sgprPackKForV0] // select K=45 for vector=0
v_perm_b32 v[vgprPackTemp], v[vgprValuB_X0_I0_D7+1], v[vgprValuB_X0_I0_D6+1], s[sgprPackKForV0] // select K=67 for vector=0
_v_lshl_or_b32 v[vgprValuB_X0_I0+9], v[vgprPackTemp], 0x10, v[vgprValuB_X0_I0+9] // pack two half Vgpr to one Vgpr
v_mfma_f32_16x16x32_bf8_fp8 a[52+0:55+0], v[vgprValuB_X0_I0+2+0+0:vgprValuB_X0_I0+2+0+0+1], v[vgprValuA_X0_I0+10+0+0:vgprValuA_X0_I0+10+0+0+1], a[52:55]
/*  mfmaIndex:11  */
_ds_load_b64 v[vgprValuB_X1_I0_D2+0:vgprValuB_X1_I0_D2+0+1], v[vgprLocalReadAddrB] offset:8704 // L -> Reg lro=8192 swapByteOffset=0 ti=256 vIdx=0 rIdx=2 oIdx=0 buffer=1 iui=0
s_cmp_eq_u32 s[sgprShadowLimitB+1], 0              // are we within 2^32?
/* pack scheduling: packAIdx:48, packBIdx:12 */
v_perm_b32 v[vgprValuB_X0_I0+10], v[vgprValuB_X0_I0_D1+1], v[vgprValuB_X0_I0_D0+1], s[sgprPackKForV1] // select K=01 for vector=1
v_perm_b32 v[vgprPackTemp], v[vgprValuB_X0_I0_D3+1], v[vgprValuB_X0_I0_D2+1], s[sgprPackKForV1] // select K=23 for vector=1
_v_lshl_or_b32 v[vgprValuB_X0_I0+10], v[vgprPackTemp], 0x10, v[vgprValuB_X0_I0+10] // pack two half Vgpr to one Vgpr
v_perm_b32 v[vgprValuB_X0_I0+11], v[vgprValuB_X0_I0_D5+1], v[vgprValuB_X0_I0_D4+1], s[sgprPackKForV1] // select K=45 for vector=1
v_perm_b32 v[vgprPackTemp], v[vgprValuB_X0_I0_D7+1], v[vgprValuB_X0_I0_D6+1], s[sgprPackKForV1] // select K=67 for vector=1
_v_lshl_or_b32 v[vgprValuB_X0_I0+11], v[vgprPackTemp], 0x10, v[vgprValuB_X0_I0+11] // pack two half Vgpr to one Vgpr
v_mfma_f32_16x16x32_bf8_fp8 a[48+0:51+0], v[vgprValuB_X0_I0+2+0+0:vgprValuB_X0_I0+2+0+0+1], v[vgprValuA_X0_I0+8+0+0:vgprValuA_X0_I0+8+0+0+1], a[48:51]
/*  mfmaIndex:12  */
_ds_load_b64 v[vgprValuB_X1_I0_D3+0:vgprValuB_X1_I0_D3+0+1], v[vgprLocalReadAddrB] offset:8960 // L -> Reg lro=8192 swapByteOffset=0 ti=256 vIdx=0 rIdx=3 oIdx=0 buffer=1 iui=0
s_cmov_b32 s[sgprSrdB+2], s[sgprShadowLimitB+0]    // Move shadow to real if we are within 2^32
/* pack scheduling: packAIdx:48, packBIdx:12 */
v_perm_b32 v[vgprValuB_X0_I0+12], v[vgprValuB_X0_I0_D1+1], v[vgprValuB_X0_I0_D0+1], s[sgprPackKForV2] // select K=01 for vector=2
v_perm_b32 v[vgprPackTemp], v[vgprValuB_X0_I0_D3+1], v[vgprValuB_X0_I0_D2+1], s[sgprPackKForV2] // select K=23 for vector=2
_v_lshl_or_b32 v[vgprValuB_X0_I0+12], v[vgprPackTemp], 0x10, v[vgprValuB_X0_I0+12] // pack two half Vgpr to one Vgpr
v_perm_b32 v[vgprValuB_X0_I0+13], v[vgprValuB_X0_I0_D5+1], v[vgprValuB_X0_I0_D4+1], s[sgprPackKForV2] // select K=45 for vector=2
v_perm_b32 v[vgprPackTemp], v[vgprValuB_X0_I0_D7+1], v[vgprValuB_X0_I0_D6+1], s[sgprPackKForV2] // select K=67 for vector=2
_v_lshl_or_b32 v[vgprValuB_X0_I0+13], v[vgprPackTemp], 0x10, v[vgprValuB_X0_I0+13] // pack two half Vgpr to one Vgpr
v_mfma_f32_16x16x32_bf8_fp8 a[44+0:47+0], v[vgprValuB_X0_I0+2+0+0:vgprValuB_X0_I0+2+0+0+1], v[vgprValuA_X0_I0+6+0+0:vgprValuA_X0_I0+6+0+0+1], a[44:47]
/*  mfmaIndex:13  */
_ds_load_b64 v[vgprValuB_X1_I0_D4+0:vgprValuB_X1_I0_D4+0+1], v[vgprLocalReadAddrB] offset:9216 // L -> Reg lro=8192 swapByteOffset=0 ti=256 vIdx=0 rIdx=4 oIdx=0 buffer=1 iui=0
/* pack scheduling: packAIdx:48, packBIdx:12 */
v_perm_b32 v[vgprValuB_X0_I0+14], v[vgprValuB_X0_I0_D1+1], v[vgprValuB_X0_I0_D0+1], s[sgprPackKForV3] // select K=01 for vector=3
v_perm_b32 v[vgprPackTemp], v[vgprValuB_X0_I0_D3+1], v[vgprValuB_X0_I0_D2+1], s[sgprPackKForV3] // select K=23 for vector=3
_v_lshl_or_b32 v[vgprValuB_X0_I0+14], v[vgprPackTemp], 0x10, v[vgprValuB_X0_I0+14] // pack two half Vgpr to one Vgpr
v_perm_b32 v[vgprValuB_X0_I0+15], v[vgprValuB_X0_I0_D5+1], v[vgprValuB_X0_I0_D4+1], s[sgprPackKForV3] // select K=45 for vector=3
v_perm_b32 v[vgprPackTemp], v[vgprValuB_X0_I0_D7+1], v[vgprValuB_X0_I0_D6+1], s[sgprPackKForV3] // select K=67 for vector=3
_v_lshl_or_b32 v[vgprValuB_X0_I0+15], v[vgprPackTemp], 0x10, v[vgprValuB_X0_I0+15] // pack two half Vgpr to one Vgpr
v_mfma_f32_16x16x32_bf8_fp8 a[40+0:43+0], v[vgprValuB_X0_I0+2+0+0:vgprValuB_X0_I0+2+0+0+1], v[vgprValuA_X0_I0+4+0+0:vgprValuA_X0_I0+4+0+0+1], a[40:43]
/*  mfmaIndex:14  */
_ds_load_b64 v[vgprValuB_X1_I0_D5+0:vgprValuB_X1_I0_D5+0+1], v[vgprLocalReadAddrB] offset:9472 // L -> Reg lro=8192 swapByteOffset=0 ti=256 vIdx=0 rIdx=5 oIdx=0 buffer=1 iui=0
v_mfma_f32_16x16x32_bf8_fp8 a[36+0:39+0], v[vgprValuB_X0_I0+2+0+0:vgprValuB_X0_I0+2+0+0+1], v[vgprValuA_X0_I0+2+0+0:vgprValuA_X0_I0+2+0+0+1], a[36:39]
/*  mfmaIndex:15  */
_ds_load_b64 v[vgprValuB_X1_I0_D6+0:vgprValuB_X1_I0_D6+0+1], v[vgprLocalReadAddrB] offset:9728 // L -> Reg lro=8192 swapByteOffset=0 ti=256 vIdx=0 rIdx=6 oIdx=0 buffer=1 iui=0
v_mfma_f32_16x16x32_bf8_fp8 a[32+0:35+0], v[vgprValuB_X0_I0+2+0+0:vgprValuB_X0_I0+2+0+0+1], v[vgprValuA_X0_I0+0+0+0:vgprValuA_X0_I0+0+0+0+1], a[32:35]
/*  mfmaIndex:16  */
_ds_load_b64 v[vgprValuB_X1_I0_D7+0:vgprValuB_X1_I0_D7+0+1], v[vgprLocalReadAddrB] offset:9984 // L -> Reg lro=8192 swapByteOffset=0 ti=256 vIdx=0 rIdx=7 oIdx=0 buffer=1 iui=0
v_mfma_f32_16x16x32_bf8_fp8 a[64+0:67+0], v[vgprValuB_X0_I0+4+0+0:vgprValuB_X0_I0+4+0+0+1], v[vgprValuA_X0_I0+0+0+0:vgprValuA_X0_I0+0+0+0+1], a[64:67]
/*  mfmaIndex:17  */
/* localReadsVacancy: latencyLeft 2 */
_ds_load_b64 v[vgprValuA_X2_I0_D0+0:vgprValuA_X2_I0_D0+0+1], v[vgprLocalReadAddrA] offset:16384 // L -> Reg lro=16384 swapByteOffset=0 ti=256 vIdx=0 rIdx=0 oIdx=0 buffer=2 iui=0
v_mfma_f32_16x16x32_bf8_fp8 a[68+0:71+0], v[vgprValuB_X0_I0+4+0+0:vgprValuB_X0_I0+4+0+0+1], v[vgprValuA_X0_I0+2+0+0:vgprValuA_X0_I0+2+0+0+1], a[68:71]
/*  mfmaIndex:18  */
/* localReadsVacancy: latencyLeft 2 */
_ds_load_b64 v[vgprValuA_X2_I0_D1+0:vgprValuA_X2_I0_D1+0+1], v[vgprLocalReadAddrA] offset:16640 // L -> Reg lro=16384 swapByteOffset=0 ti=256 vIdx=0 rIdx=1 oIdx=0 buffer=2 iui=0
v_mfma_f32_16x16x32_bf8_fp8 a[72+0:75+0], v[vgprValuB_X0_I0+4+0+0:vgprValuB_X0_I0+4+0+0+1], v[vgprValuA_X0_I0+4+0+0:vgprValuA_X0_I0+4+0+0+1], a[72:75]
/*  mfmaIndex:19  */
/* localReadsVacancy: latencyLeft 2 */
_ds_load_b64 v[vgprValuA_X2_I0_D2+0:vgprValuA_X2_I0_D2+0+1], v[vgprLocalReadAddrA] offset:16896 // L -> Reg lro=16384 swapByteOffset=0 ti=256 vIdx=0 rIdx=2 oIdx=0 buffer=2 iui=0
v_mfma_f32_16x16x32_bf8_fp8 a[76+0:79+0], v[vgprValuB_X0_I0+4+0+0:vgprValuB_X0_I0+4+0+0+1], v[vgprValuA_X0_I0+6+0+0:vgprValuA_X0_I0+6+0+0+1], a[76:79]
/*  mfmaIndex:20  */
/* localReadsVacancy: latencyLeft 2 */
_ds_load_b64 v[vgprValuA_X2_I0_D3+0:vgprValuA_X2_I0_D3+0+1], v[vgprLocalReadAddrA] offset:17152 // L -> Reg lro=16384 swapByteOffset=0 ti=256 vIdx=0 rIdx=3 oIdx=0 buffer=2 iui=0
v_mfma_f32_16x16x32_bf8_fp8 a[80+0:83+0], v[vgprValuB_X0_I0+4+0+0:vgprValuB_X0_I0+4+0+0+1], v[vgprValuA_X0_I0+8+0+0:vgprValuA_X0_I0+8+0+0+1], a[80:83]
/*  mfmaIndex:21  */
/* localReadsVacancy: latencyLeft 2 */
_ds_load_b64 v[vgprValuA_X2_I0_D4+0:vgprValuA_X2_I0_D4+0+1], v[vgprLocalReadAddrA] offset:17408 // L -> Reg lro=16384 swapByteOffset=0 ti=256 vIdx=0 rIdx=4 oIdx=0 buffer=2 iui=0
v_mfma_f32_16x16x32_bf8_fp8 a[84+0:87+0], v[vgprValuB_X0_I0+4+0+0:vgprValuB_X0_I0+4+0+0+1], v[vgprValuA_X0_I0+10+0+0:vgprValuA_X0_I0+10+0+0+1], a[84:87]
/*  mfmaIndex:22  */
/* localReadsVacancy: latencyLeft 2 */
_ds_load_b64 v[vgprValuA_X2_I0_D5+0:vgprValuA_X2_I0_D5+0+1], v[vgprLocalReadAddrA] offset:17664 // L -> Reg lro=16384 swapByteOffset=0 ti=256 vIdx=0 rIdx=5 oIdx=0 buffer=2 iui=0
v_mfma_f32_16x16x32_bf8_fp8 a[88+0:91+0], v[vgprValuB_X0_I0+4+0+0:vgprValuB_X0_I0+4+0+0+1], v[vgprValuA_X0_I0+12+0+0:vgprValuA_X0_I0+12+0+0+1], a[88:91]
/*  mfmaIndex:23  */
/* localReadsVacancy: latencyLeft 2 */
_ds_load_b64 v[vgprValuA_X2_I0_D6+0:vgprValuA_X2_I0_D6+0+1], v[vgprLocalReadAddrA] offset:17920 // L -> Reg lro=16384 swapByteOffset=0 ti=256 vIdx=0 rIdx=6 oIdx=0 buffer=2 iui=0
v_mfma_f32_16x16x32_bf8_fp8 a[92+0:95+0], v[vgprValuB_X0_I0+4+0+0:vgprValuB_X0_I0+4+0+0+1], v[vgprValuA_X0_I0+14+0+0:vgprValuA_X0_I0+14+0+0+1], a[92:95]
/*  mfmaIndex:24  */
/* localReadsVacancy: latencyLeft 2 */
_ds_load_b64 v[vgprValuA_X2_I0_D7+0:vgprValuA_X2_I0_D7+0+1], v[vgprLocalReadAddrA] offset:18176 // L -> Reg lro=16384 swapByteOffset=0 ti=256 vIdx=0 rIdx=7 oIdx=0 buffer=2 iui=0
v_mfma_f32_16x16x32_bf8_fp8 a[124+0:127+0], v[vgprValuB_X0_I0+6+0+0:vgprValuB_X0_I0+6+0+0+1], v[vgprValuA_X0_I0+14+0+0:vgprValuA_X0_I0+14+0+0+1], a[124:127]
/*  mfmaIndex:25  */
/* localReadsVacancy: latencyLeft 2 */
_ds_load_b64 v[vgprValuB_X2_I0_D0+0:vgprValuB_X2_I0_D0+0+1], v[vgprLocalReadAddrB] offset:16384 // L -> Reg lro=16384 swapByteOffset=0 ti=256 vIdx=0 rIdx=0 oIdx=0 buffer=2 iui=0
v_mfma_f32_16x16x32_bf8_fp8 a[120+0:123+0], v[vgprValuB_X0_I0+6+0+0:vgprValuB_X0_I0+6+0+0+1], v[vgprValuA_X0_I0+12+0+0:vgprValuA_X0_I0+12+0+0+1], a[120:123]
/*  mfmaIndex:26  */
/* localReadsVacancy: latencyLeft 2 */
_ds_load_b64 v[vgprValuB_X2_I0_D1+0:vgprValuB_X2_I0_D1+0+1], v[vgprLocalReadAddrB] offset:16640 // L -> Reg lro=16384 swapByteOffset=0 ti=256 vIdx=0 rIdx=1 oIdx=0 buffer=2 iui=0
v_mfma_f32_16x16x32_bf8_fp8 a[116+0:119+0], v[vgprValuB_X0_I0+6+0+0:vgprValuB_X0_I0+6+0+0+1], v[vgprValuA_X0_I0+10+0+0:vgprValuA_X0_I0+10+0+0+1], a[116:119]
/*  mfmaIndex:27  */
/* localReadsVacancy: latencyLeft 2 */
_ds_load_b64 v[vgprValuB_X2_I0_D2+0:vgprValuB_X2_I0_D2+0+1], v[vgprLocalReadAddrB] offset:16896 // L -> Reg lro=16384 swapByteOffset=0 ti=256 vIdx=0 rIdx=2 oIdx=0 buffer=2 iui=0
v_mfma_f32_16x16x32_bf8_fp8 a[112+0:115+0], v[vgprValuB_X0_I0+6+0+0:vgprValuB_X0_I0+6+0+0+1], v[vgprValuA_X0_I0+8+0+0:vgprValuA_X0_I0+8+0+0+1], a[112:115]
/*  mfmaIndex:28  */
/* localReadsVacancy: latencyLeft 2 */
_ds_load_b64 v[vgprValuB_X2_I0_D3+0:vgprValuB_X2_I0_D3+0+1], v[vgprLocalReadAddrB] offset:17152 // L -> Reg lro=16384 swapByteOffset=0 ti=256 vIdx=0 rIdx=3 oIdx=0 buffer=2 iui=0
v_mfma_f32_16x16x32_bf8_fp8 a[108+0:111+0], v[vgprValuB_X0_I0+6+0+0:vgprValuB_X0_I0+6+0+0+1], v[vgprValuA_X0_I0+6+0+0:vgprValuA_X0_I0+6+0+0+1], a[108:111]
/*  mfmaIndex:29  */
/* localReadsVacancy: latencyLeft 2 */
_ds_load_b64 v[vgprValuB_X2_I0_D4+0:vgprValuB_X2_I0_D4+0+1], v[vgprLocalReadAddrB] offset:17408 // L -> Reg lro=16384 swapByteOffset=0 ti=256 vIdx=0 rIdx=4 oIdx=0 buffer=2 iui=0
v_mfma_f32_16x16x32_bf8_fp8 a[104+0:107+0], v[vgprValuB_X0_I0+6+0+0:vgprValuB_X0_I0+6+0+0+1], v[vgprValuA_X0_I0+4+0+0:vgprValuA_X0_I0+4+0+0+1], a[104:107]
/*  mfmaIndex:30  */
/* localReadsVacancy: latencyLeft 2 */
_ds_load_b64 v[vgprValuB_X2_I0_D5+0:vgprValuB_X2_I0_D5+0+1], v[vgprLocalReadAddrB] offset:17664 // L -> Reg lro=16384 swapByteOffset=0 ti=256 vIdx=0 rIdx=5 oIdx=0 buffer=2 iui=0
v_mfma_f32_16x16x32_bf8_fp8 a[100+0:103+0], v[vgprValuB_X0_I0+6+0+0:vgprValuB_X0_I0+6+0+0+1], v[vgprValuA_X0_I0+2+0+0:vgprValuA_X0_I0+2+0+0+1], a[100:103]
/*  mfmaIndex:31  */
/* localReadsVacancy: latencyLeft 2 */
_ds_load_b64 v[vgprValuB_X2_I0_D6+0:vgprValuB_X2_I0_D6+0+1], v[vgprLocalReadAddrB] offset:17920 // L -> Reg lro=16384 swapByteOffset=0 ti=256 vIdx=0 rIdx=6 oIdx=0 buffer=2 iui=0
v_mfma_f32_16x16x32_bf8_fp8 a[96+0:99+0], v[vgprValuB_X0_I0+6+0+0:vgprValuB_X0_I0+6+0+0+1], v[vgprValuA_X0_I0+0+0+0:vgprValuA_X0_I0+0+0+0+1], a[96:99]
/*  mfmaIndex:32  */
/* localReadsVacancy: latencyLeft 2 */
_ds_load_b64 v[vgprValuB_X2_I0_D7+0:vgprValuB_X2_I0_D7+0+1], v[vgprLocalReadAddrB] offset:18176 // L -> Reg lro=16384 swapByteOffset=0 ti=256 vIdx=0 rIdx=7 oIdx=0 buffer=2 iui=0
v_mfma_f32_16x16x32_bf8_fp8 a[128+0:131+0], v[vgprValuB_X0_I0+8+0+0:vgprValuB_X0_I0+8+0+0+1], v[vgprValuA_X0_I0+0+0+0:vgprValuA_X0_I0+0+0+0+1], a[128:131]
/*  mfmaIndex:33  */
/* localReadsVacancy: latencyLeft 2 */
_ds_load_b64 v[vgprValuA_X3_I0_D0+0:vgprValuA_X3_I0_D0+0+1], v[vgprLocalReadAddrA] offset:24576 // L -> Reg lro=24576 swapByteOffset=0 ti=256 vIdx=0 rIdx=0 oIdx=0 buffer=3 iui=0
v_mfma_f32_16x16x32_bf8_fp8 a[132+0:135+0], v[vgprValuB_X0_I0+8+0+0:vgprValuB_X0_I0+8+0+0+1], v[vgprValuA_X0_I0+2+0+0:vgprValuA_X0_I0+2+0+0+1], a[132:135]
/*  mfmaIndex:34  */
/* localReadsVacancy: latencyLeft 2 */
_ds_load_b64 v[vgprValuA_X3_I0_D1+0:vgprValuA_X3_I0_D1+0+1], v[vgprLocalReadAddrA] offset:24832 // L -> Reg lro=24576 swapByteOffset=0 ti=256 vIdx=0 rIdx=1 oIdx=0 buffer=3 iui=0
v_mfma_f32_16x16x32_bf8_fp8 a[136+0:139+0], v[vgprValuB_X0_I0+8+0+0:vgprValuB_X0_I0+8+0+0+1], v[vgprValuA_X0_I0+4+0+0:vgprValuA_X0_I0+4+0+0+1], a[136:139]
/*  mfmaIndex:35  */
/* localReadsVacancy: latencyLeft 2 */
_ds_load_b64 v[vgprValuA_X3_I0_D2+0:vgprValuA_X3_I0_D2+0+1], v[vgprLocalReadAddrA] offset:25088 // L -> Reg lro=24576 swapByteOffset=0 ti=256 vIdx=0 rIdx=2 oIdx=0 buffer=3 iui=0
v_mfma_f32_16x16x32_bf8_fp8 a[140+0:143+0], v[vgprValuB_X0_I0+8+0+0:vgprValuB_X0_I0+8+0+0+1], v[vgprValuA_X0_I0+6+0+0:vgprValuA_X0_I0+6+0+0+1], a[140:143]
/*  mfmaIndex:36  */
/* localReadsVacancy: latencyLeft 2 */
_ds_load_b64 v[vgprValuA_X3_I0_D3+0:vgprValuA_X3_I0_D3+0+1], v[vgprLocalReadAddrA] offset:25344 // L -> Reg lro=24576 swapByteOffset=0 ti=256 vIdx=0 rIdx=3 oIdx=0 buffer=3 iui=0
v_mfma_f32_16x16x32_bf8_fp8 a[144+0:147+0], v[vgprValuB_X0_I0+8+0+0:vgprValuB_X0_I0+8+0+0+1], v[vgprValuA_X0_I0+8+0+0:vgprValuA_X0_I0+8+0+0+1], a[144:147]
/*  mfmaIndex:37  */
/* localReadsVacancy: latencyLeft 2 */
_ds_load_b64 v[vgprValuA_X3_I0_D4+0:vgprValuA_X3_I0_D4+0+1], v[vgprLocalReadAddrA] offset:25600 // L -> Reg lro=24576 swapByteOffset=0 ti=256 vIdx=0 rIdx=4 oIdx=0 buffer=3 iui=0
v_mfma_f32_16x16x32_bf8_fp8 a[148+0:151+0], v[vgprValuB_X0_I0+8+0+0:vgprValuB_X0_I0+8+0+0+1], v[vgprValuA_X0_I0+10+0+0:vgprValuA_X0_I0+10+0+0+1], a[148:151]
/*  mfmaIndex:38  */
/* localReadsVacancy: latencyLeft 2 */
_ds_load_b64 v[vgprValuA_X3_I0_D5+0:vgprValuA_X3_I0_D5+0+1], v[vgprLocalReadAddrA] offset:25856 // L -> Reg lro=24576 swapByteOffset=0 ti=256 vIdx=0 rIdx=5 oIdx=0 buffer=3 iui=0
v_mfma_f32_16x16x32_bf8_fp8 a[152+0:155+0], v[vgprValuB_X0_I0+8+0+0:vgprValuB_X0_I0+8+0+0+1], v[vgprValuA_X0_I0+12+0+0:vgprValuA_X0_I0+12+0+0+1], a[152:155]
/*  mfmaIndex:39  */
/* localReadsVacancy: latencyLeft 2 */
_ds_load_b64 v[vgprValuA_X3_I0_D6+0:vgprValuA_X3_I0_D6+0+1], v[vgprLocalReadAddrA] offset:26112 // L -> Reg lro=24576 swapByteOffset=0 ti=256 vIdx=0 rIdx=6 oIdx=0 buffer=3 iui=0
v_mfma_f32_16x16x32_bf8_fp8 a[156+0:159+0], v[vgprValuB_X0_I0+8+0+0:vgprValuB_X0_I0+8+0+0+1], v[vgprValuA_X0_I0+14+0+0:vgprValuA_X0_I0+14+0+0+1], a[156:159]
/*  mfmaIndex:40  */
/* localReadsVacancy: latencyLeft 2 */
_ds_load_b64 v[vgprValuA_X3_I0_D7+0:vgprValuA_X3_I0_D7+0+1], v[vgprLocalReadAddrA] offset:26368 // L -> Reg lro=24576 swapByteOffset=0 ti=256 vIdx=0 rIdx=7 oIdx=0 buffer=3 iui=0
v_mfma_f32_16x16x32_bf8_fp8 a[188+0:191+0], v[vgprValuB_X0_I0+10+0+0:vgprValuB_X0_I0+10+0+0+1], v[vgprValuA_X0_I0+14+0+0:vgprValuA_X0_I0+14+0+0+1], a[188:191]
/*  mfmaIndex:41  */
/* localReadsVacancy: latencyLeft 2 */
_ds_load_b64 v[vgprValuB_X3_I0_D0+0:vgprValuB_X3_I0_D0+0+1], v[vgprLocalReadAddrB] offset:24576 // L -> Reg lro=24576 swapByteOffset=0 ti=256 vIdx=0 rIdx=0 oIdx=0 buffer=3 iui=0
v_mfma_f32_16x16x32_bf8_fp8 a[184+0:187+0], v[vgprValuB_X0_I0+10+0+0:vgprValuB_X0_I0+10+0+0+1], v[vgprValuA_X0_I0+12+0+0:vgprValuA_X0_I0+12+0+0+1], a[184:187]
/*  mfmaIndex:42  */
/* localReadsVacancy: latencyLeft 2 */
_ds_load_b64 v[vgprValuB_X3_I0_D1+0:vgprValuB_X3_I0_D1+0+1], v[vgprLocalReadAddrB] offset:24832 // L -> Reg lro=24576 swapByteOffset=0 ti=256 vIdx=0 rIdx=1 oIdx=0 buffer=3 iui=0
v_mfma_f32_16x16x32_bf8_fp8 a[180+0:183+0], v[vgprValuB_X0_I0+10+0+0:vgprValuB_X0_I0+10+0+0+1], v[vgprValuA_X0_I0+10+0+0:vgprValuA_X0_I0+10+0+0+1], a[180:183]
/*  mfmaIndex:43  */
/* localReadsVacancy: latencyLeft 2 */
_ds_load_b64 v[vgprValuB_X3_I0_D2+0:vgprValuB_X3_I0_D2+0+1], v[vgprLocalReadAddrB] offset:25088 // L -> Reg lro=24576 swapByteOffset=0 ti=256 vIdx=0 rIdx=2 oIdx=0 buffer=3 iui=0
v_mfma_f32_16x16x32_bf8_fp8 a[176+0:179+0], v[vgprValuB_X0_I0+10+0+0:vgprValuB_X0_I0+10+0+0+1], v[vgprValuA_X0_I0+8+0+0:vgprValuA_X0_I0+8+0+0+1], a[176:179]
/*  mfmaIndex:44  */
/* localReadsVacancy: latencyLeft 2 */
_ds_load_b64 v[vgprValuB_X3_I0_D3+0:vgprValuB_X3_I0_D3+0+1], v[vgprLocalReadAddrB] offset:25344 // L -> Reg lro=24576 swapByteOffset=0 ti=256 vIdx=0 rIdx=3 oIdx=0 buffer=3 iui=0
v_mfma_f32_16x16x32_bf8_fp8 a[172+0:175+0], v[vgprValuB_X0_I0+10+0+0:vgprValuB_X0_I0+10+0+0+1], v[vgprValuA_X0_I0+6+0+0:vgprValuA_X0_I0+6+0+0+1], a[172:175]
/*  mfmaIndex:45  */
/* localReadsVacancy: latencyLeft 2 */
_ds_load_b64 v[vgprValuB_X3_I0_D4+0:vgprValuB_X3_I0_D4+0+1], v[vgprLocalReadAddrB] offset:25600 // L -> Reg lro=24576 swapByteOffset=0 ti=256 vIdx=0 rIdx=4 oIdx=0 buffer=3 iui=0
v_mfma_f32_16x16x32_bf8_fp8 a[168+0:171+0], v[vgprValuB_X0_I0+10+0+0:vgprValuB_X0_I0+10+0+0+1], v[vgprValuA_X0_I0+4+0+0:vgprValuA_X0_I0+4+0+0+1], a[168:171]
/*  mfmaIndex:46  */
/* localReadsVacancy: latencyLeft 2 */
_ds_load_b64 v[vgprValuB_X3_I0_D5+0:vgprValuB_X3_I0_D5+0+1], v[vgprLocalReadAddrB] offset:25856 // L -> Reg lro=24576 swapByteOffset=0 ti=256 vIdx=0 rIdx=5 oIdx=0 buffer=3 iui=0
v_mfma_f32_16x16x32_bf8_fp8 a[164+0:167+0], v[vgprValuB_X0_I0+10+0+0:vgprValuB_X0_I0+10+0+0+1], v[vgprValuA_X0_I0+2+0+0:vgprValuA_X0_I0+2+0+0+1], a[164:167]
/*  mfmaIndex:47  */
/* localReadsVacancy: latencyLeft 2 */
_ds_load_b64 v[vgprValuB_X3_I0_D6+0:vgprValuB_X3_I0_D6+0+1], v[vgprLocalReadAddrB] offset:26112 // L -> Reg lro=24576 swapByteOffset=0 ti=256 vIdx=0 rIdx=6 oIdx=0 buffer=3 iui=0
v_mfma_f32_16x16x32_bf8_fp8 a[160+0:163+0], v[vgprValuB_X0_I0+10+0+0:vgprValuB_X0_I0+10+0+0+1], v[vgprValuA_X0_I0+0+0+0:vgprValuA_X0_I0+0+0+0+1], a[160:163]
/*  mfmaIndex:48  */
/* localReadsVacancy: latencyLeft 2 */
_ds_load_b64 v[vgprValuB_X3_I0_D7+0:vgprValuB_X3_I0_D7+0+1], v[vgprLocalReadAddrB] offset:26368 // L -> Reg lro=24576 swapByteOffset=0 ti=256 vIdx=0 rIdx=7 oIdx=0 buffer=3 iui=0
v_mfma_f32_16x16x32_bf8_fp8 a[192+0:195+0], v[vgprValuB_X0_I0+12+0+0:vgprValuB_X0_I0+12+0+0+1], v[vgprValuA_X0_I0+0+0+0:vgprValuA_X0_I0+0+0+0+1], a[192:195]
/*  mfmaIndex:49  */
/* localReadsVacancy: latencyLeft 2 */
v_mfma_f32_16x16x32_bf8_fp8 a[196+0:199+0], v[vgprValuB_X0_I0+12+0+0:vgprValuB_X0_I0+12+0+0+1], v[vgprValuA_X0_I0+2+0+0:vgprValuA_X0_I0+2+0+0+1], a[196:199]
/*  mfmaIndex:50  */
/* localReadsVacancy: latencyLeft 2 */
	;; [unrolled: 3-line block ×13, first 2 shown]
/* 1 LDS buffer: read-sync-write */
s_waitcnt lgkmcnt(0)                               // 
s_barrier                                          // 
v_mfma_f32_16x16x32_bf8_fp8 a[232+0:235+0], v[vgprValuB_X0_I0+14+0+0:vgprValuB_X0_I0+14+0+0+1], v[vgprValuA_X0_I0+4+0+0:vgprValuA_X0_I0+4+0+0+1], a[232:235]
/*  mfmaIndex:62  */
s_setprio 3                                        // store optimization
/* sched write - iter 0 writesPerItem=1 */
s_waitcnt vmcnt(0)                                 // lgkmcnt=-1 vmcnt=0wait for global read before writing to local
_ds_store_b128 v[vgprLocalWriteAddrA], v[vgprG2LA+0:vgprG2LA+0+3] offset:0 // lwoA_0_0_0_0 = (0*LSCA) + (0*LSPA)(*MT0I+PAD) = 0
v_mfma_f32_16x16x32_bf8_fp8 a[228+0:231+0], v[vgprValuB_X0_I0+14+0+0:vgprValuB_X0_I0+14+0+0+1], v[vgprValuA_X0_I0+2+0+0:vgprValuA_X0_I0+2+0+0+1], a[228:231]
/*  mfmaIndex:63  */
_buffer_load_b128 v[vgprG2LA+0:vgprG2LA+0+3], v[vgprGlobalReadOffsetA+0], s[sgprSrdA:sgprSrdA+3], 0, offen offset:0 // G -> Reg 0_0_0_0
v_mfma_f32_16x16x32_bf8_fp8 a[224+0:227+0], v[vgprValuB_X0_I0+14+0+0:vgprValuB_X0_I0+14+0+0+1], v[vgprValuA_X0_I0+0+0+0:vgprValuA_X0_I0+0+0+0+1], a[224:227]
/* numPrefetchIter=0 */
/* dataAtIterA=-1 numReadsIterA=1 skipReadsIterA=1 readsPerIterA=8 */
/* dataAtIterB=-1 numReadsIterB=1 skipReadsIterB=1 readsPerIterB=8 */


/* iter 1 */

/*  grEndMfmaIndex:12, lwStartMfmaIndex:62, lwEndMfmaIndex:229  */
/*  numMfmaForLR:21, barrierMfmaIndex:234, LocalWritePerMfma:0.090 */
/*  mfmaIndex:64  */
/* pack scheduling: packAIdx:6, packBIdx:6 */
v_perm_b32 v[vgprValuA_X1_I0+0], v[vgprValuA_X1_I0_D1+0], v[vgprValuA_X1_I0_D0+0], s[sgprPackKForV0] // select K=01 for vector=0
v_perm_b32 v[vgprPackTemp], v[vgprValuA_X1_I0_D3+0], v[vgprValuA_X1_I0_D2+0], s[sgprPackKForV0] // select K=23 for vector=0
_v_lshl_or_b32 v[vgprValuA_X1_I0+0], v[vgprPackTemp], 0x10, v[vgprValuA_X1_I0+0] // pack two half Vgpr to one Vgpr
v_perm_b32 v[vgprValuA_X1_I0+1], v[vgprValuA_X1_I0_D5+0], v[vgprValuA_X1_I0_D4+0], s[sgprPackKForV0] // select K=45 for vector=0
v_perm_b32 v[vgprPackTemp], v[vgprValuA_X1_I0_D7+0], v[vgprValuA_X1_I0_D6+0], s[sgprPackKForV0] // select K=67 for vector=0
_v_lshl_or_b32 v[vgprValuA_X1_I0+1], v[vgprPackTemp], 0x10, v[vgprValuA_X1_I0+1] // pack two half Vgpr to one Vgpr
v_perm_b32 v[vgprValuB_X1_I0+0], v[vgprValuB_X1_I0_D1+0], v[vgprValuB_X1_I0_D0+0], s[sgprPackKForV0] // select K=01 for vector=0
v_perm_b32 v[vgprPackTemp], v[vgprValuB_X1_I0_D3+0], v[vgprValuB_X1_I0_D2+0], s[sgprPackKForV0] // select K=23 for vector=0
_v_lshl_or_b32 v[vgprValuB_X1_I0+0], v[vgprPackTemp], 0x10, v[vgprValuB_X1_I0+0] // pack two half Vgpr to one Vgpr
v_perm_b32 v[vgprValuB_X1_I0+1], v[vgprValuB_X1_I0_D5+0], v[vgprValuB_X1_I0_D4+0], s[sgprPackKForV0] // select K=45 for vector=0
v_perm_b32 v[vgprPackTemp], v[vgprValuB_X1_I0_D7+0], v[vgprValuB_X1_I0_D6+0], s[sgprPackKForV0] // select K=67 for vector=0
_v_lshl_or_b32 v[vgprValuB_X1_I0+1], v[vgprPackTemp], 0x10, v[vgprValuB_X1_I0+1] // pack two half Vgpr to one Vgpr
v_perm_b32 v[vgprValuA_X1_I0+2], v[vgprValuA_X1_I0_D1+0], v[vgprValuA_X1_I0_D0+0], s[sgprPackKForV1] // select K=01 for vector=1
v_perm_b32 v[vgprPackTemp], v[vgprValuA_X1_I0_D3+0], v[vgprValuA_X1_I0_D2+0], s[sgprPackKForV1] // select K=23 for vector=1
_v_lshl_or_b32 v[vgprValuA_X1_I0+2], v[vgprPackTemp], 0x10, v[vgprValuA_X1_I0+2] // pack two half Vgpr to one Vgpr
v_perm_b32 v[vgprValuA_X1_I0+3], v[vgprValuA_X1_I0_D5+0], v[vgprValuA_X1_I0_D4+0], s[sgprPackKForV1] // select K=45 for vector=1
v_perm_b32 v[vgprPackTemp], v[vgprValuA_X1_I0_D7+0], v[vgprValuA_X1_I0_D6+0], s[sgprPackKForV1] // select K=67 for vector=1
_v_lshl_or_b32 v[vgprValuA_X1_I0+3], v[vgprPackTemp], 0x10, v[vgprValuA_X1_I0+3] // pack two half Vgpr to one Vgpr
v_mfma_f32_16x16x32_bf8_fp8 a[0+0:3+0], v[vgprValuB_X1_I0+0+0+0:vgprValuB_X1_I0+0+0+0+1], v[vgprValuA_X1_I0+0+0+0:vgprValuA_X1_I0+0+0+0+1], a[0:3]
/*  mfmaIndex:65  */
/* pack scheduling: packAIdx:12, packBIdx:6 */
v_perm_b32 v[vgprValuA_X1_I0+4], v[vgprValuA_X1_I0_D1+0], v[vgprValuA_X1_I0_D0+0], s[sgprPackKForV2] // select K=01 for vector=2
v_perm_b32 v[vgprPackTemp], v[vgprValuA_X1_I0_D3+0], v[vgprValuA_X1_I0_D2+0], s[sgprPackKForV2] // select K=23 for vector=2
_v_lshl_or_b32 v[vgprValuA_X1_I0+4], v[vgprPackTemp], 0x10, v[vgprValuA_X1_I0+4] // pack two half Vgpr to one Vgpr
v_perm_b32 v[vgprValuA_X1_I0+5], v[vgprValuA_X1_I0_D5+0], v[vgprValuA_X1_I0_D4+0], s[sgprPackKForV2] // select K=45 for vector=2
v_perm_b32 v[vgprPackTemp], v[vgprValuA_X1_I0_D7+0], v[vgprValuA_X1_I0_D6+0], s[sgprPackKForV2] // select K=67 for vector=2
_v_lshl_or_b32 v[vgprValuA_X1_I0+5], v[vgprPackTemp], 0x10, v[vgprValuA_X1_I0+5] // pack two half Vgpr to one Vgpr
v_mfma_f32_16x16x32_bf8_fp8 a[4+0:7+0], v[vgprValuB_X1_I0+0+0+0:vgprValuB_X1_I0+0+0+0+1], v[vgprValuA_X1_I0+2+0+0:vgprValuA_X1_I0+2+0+0+1], a[4:7]
/*  mfmaIndex:66  */
/* pack scheduling: packAIdx:18, packBIdx:6 */
v_perm_b32 v[vgprValuA_X1_I0+6], v[vgprValuA_X1_I0_D1+0], v[vgprValuA_X1_I0_D0+0], s[sgprPackKForV3] // select K=01 for vector=3
v_perm_b32 v[vgprPackTemp], v[vgprValuA_X1_I0_D3+0], v[vgprValuA_X1_I0_D2+0], s[sgprPackKForV3] // select K=23 for vector=3
_v_lshl_or_b32 v[vgprValuA_X1_I0+6], v[vgprPackTemp], 0x10, v[vgprValuA_X1_I0+6] // pack two half Vgpr to one Vgpr
v_perm_b32 v[vgprValuA_X1_I0+7], v[vgprValuA_X1_I0_D5+0], v[vgprValuA_X1_I0_D4+0], s[sgprPackKForV3] // select K=45 for vector=3
v_perm_b32 v[vgprPackTemp], v[vgprValuA_X1_I0_D7+0], v[vgprValuA_X1_I0_D6+0], s[sgprPackKForV3] // select K=67 for vector=3
_v_lshl_or_b32 v[vgprValuA_X1_I0+7], v[vgprPackTemp], 0x10, v[vgprValuA_X1_I0+7] // pack two half Vgpr to one Vgpr
v_mfma_f32_16x16x32_bf8_fp8 a[8+0:11+0], v[vgprValuB_X1_I0+0+0+0:vgprValuB_X1_I0+0+0+0+1], v[vgprValuA_X1_I0+4+0+0:vgprValuA_X1_I0+4+0+0+1], a[8:11]
/*  mfmaIndex:67  */
/* pack scheduling: packAIdx:24, packBIdx:6 */
v_perm_b32 v[vgprValuA_X1_I0+8], v[vgprValuA_X1_I0_D1+1], v[vgprValuA_X1_I0_D0+1], s[sgprPackKForV0] // select K=01 for vector=0
v_perm_b32 v[vgprPackTemp], v[vgprValuA_X1_I0_D3+1], v[vgprValuA_X1_I0_D2+1], s[sgprPackKForV0] // select K=23 for vector=0
_v_lshl_or_b32 v[vgprValuA_X1_I0+8], v[vgprPackTemp], 0x10, v[vgprValuA_X1_I0+8] // pack two half Vgpr to one Vgpr
v_perm_b32 v[vgprValuA_X1_I0+9], v[vgprValuA_X1_I0_D5+1], v[vgprValuA_X1_I0_D4+1], s[sgprPackKForV0] // select K=45 for vector=0
v_perm_b32 v[vgprPackTemp], v[vgprValuA_X1_I0_D7+1], v[vgprValuA_X1_I0_D6+1], s[sgprPackKForV0] // select K=67 for vector=0
_v_lshl_or_b32 v[vgprValuA_X1_I0+9], v[vgprPackTemp], 0x10, v[vgprValuA_X1_I0+9] // pack two half Vgpr to one Vgpr
v_mfma_f32_16x16x32_bf8_fp8 a[12+0:15+0], v[vgprValuB_X1_I0+0+0+0:vgprValuB_X1_I0+0+0+0+1], v[vgprValuA_X1_I0+6+0+0:vgprValuA_X1_I0+6+0+0+1], a[12:15]
/*  mfmaIndex:68  */
/* pack scheduling: packAIdx:30, packBIdx:6 */
v_perm_b32 v[vgprValuA_X1_I0+10], v[vgprValuA_X1_I0_D1+1], v[vgprValuA_X1_I0_D0+1], s[sgprPackKForV1] // select K=01 for vector=1
v_perm_b32 v[vgprPackTemp], v[vgprValuA_X1_I0_D3+1], v[vgprValuA_X1_I0_D2+1], s[sgprPackKForV1] // select K=23 for vector=1
_v_lshl_or_b32 v[vgprValuA_X1_I0+10], v[vgprPackTemp], 0x10, v[vgprValuA_X1_I0+10] // pack two half Vgpr to one Vgpr
v_perm_b32 v[vgprValuA_X1_I0+11], v[vgprValuA_X1_I0_D5+1], v[vgprValuA_X1_I0_D4+1], s[sgprPackKForV1] // select K=45 for vector=1
v_perm_b32 v[vgprPackTemp], v[vgprValuA_X1_I0_D7+1], v[vgprValuA_X1_I0_D6+1], s[sgprPackKForV1] // select K=67 for vector=1
_v_lshl_or_b32 v[vgprValuA_X1_I0+11], v[vgprPackTemp], 0x10, v[vgprValuA_X1_I0+11] // pack two half Vgpr to one Vgpr
v_mfma_f32_16x16x32_bf8_fp8 a[16+0:19+0], v[vgprValuB_X1_I0+0+0+0:vgprValuB_X1_I0+0+0+0+1], v[vgprValuA_X1_I0+8+0+0:vgprValuA_X1_I0+8+0+0+1], a[16:19]
/*  mfmaIndex:69  */
/* pack scheduling: packAIdx:36, packBIdx:6 */
v_perm_b32 v[vgprValuA_X1_I0+12], v[vgprValuA_X1_I0_D1+1], v[vgprValuA_X1_I0_D0+1], s[sgprPackKForV2] // select K=01 for vector=2
v_perm_b32 v[vgprPackTemp], v[vgprValuA_X1_I0_D3+1], v[vgprValuA_X1_I0_D2+1], s[sgprPackKForV2] // select K=23 for vector=2
_v_lshl_or_b32 v[vgprValuA_X1_I0+12], v[vgprPackTemp], 0x10, v[vgprValuA_X1_I0+12] // pack two half Vgpr to one Vgpr
v_perm_b32 v[vgprValuA_X1_I0+13], v[vgprValuA_X1_I0_D5+1], v[vgprValuA_X1_I0_D4+1], s[sgprPackKForV2] // select K=45 for vector=2
v_perm_b32 v[vgprPackTemp], v[vgprValuA_X1_I0_D7+1], v[vgprValuA_X1_I0_D6+1], s[sgprPackKForV2] // select K=67 for vector=2
_v_lshl_or_b32 v[vgprValuA_X1_I0+13], v[vgprPackTemp], 0x10, v[vgprValuA_X1_I0+13] // pack two half Vgpr to one Vgpr
v_mfma_f32_16x16x32_bf8_fp8 a[20+0:23+0], v[vgprValuB_X1_I0+0+0+0:vgprValuB_X1_I0+0+0+0+1], v[vgprValuA_X1_I0+10+0+0:vgprValuA_X1_I0+10+0+0+1], a[20:23]
/*  mfmaIndex:70  */
/* pack scheduling: packAIdx:42, packBIdx:6 */
v_perm_b32 v[vgprValuA_X1_I0+14], v[vgprValuA_X1_I0_D1+1], v[vgprValuA_X1_I0_D0+1], s[sgprPackKForV3] // select K=01 for vector=3
v_perm_b32 v[vgprPackTemp], v[vgprValuA_X1_I0_D3+1], v[vgprValuA_X1_I0_D2+1], s[sgprPackKForV3] // select K=23 for vector=3
_v_lshl_or_b32 v[vgprValuA_X1_I0+14], v[vgprPackTemp], 0x10, v[vgprValuA_X1_I0+14] // pack two half Vgpr to one Vgpr
v_perm_b32 v[vgprValuA_X1_I0+15], v[vgprValuA_X1_I0_D5+1], v[vgprValuA_X1_I0_D4+1], s[sgprPackKForV3] // select K=45 for vector=3
v_perm_b32 v[vgprPackTemp], v[vgprValuA_X1_I0_D7+1], v[vgprValuA_X1_I0_D6+1], s[sgprPackKForV3] // select K=67 for vector=3
_v_lshl_or_b32 v[vgprValuA_X1_I0+15], v[vgprPackTemp], 0x10, v[vgprValuA_X1_I0+15] // pack two half Vgpr to one Vgpr
v_mfma_f32_16x16x32_bf8_fp8 a[24+0:27+0], v[vgprValuB_X1_I0+0+0+0:vgprValuB_X1_I0+0+0+0+1], v[vgprValuA_X1_I0+12+0+0:vgprValuA_X1_I0+12+0+0+1], a[24:27]
/*  mfmaIndex:71  */
/* pack scheduling: packAIdx:48, packBIdx:6 */
v_perm_b32 v[vgprValuB_X1_I0+2], v[vgprValuB_X1_I0_D1+0], v[vgprValuB_X1_I0_D0+0], s[sgprPackKForV1] // select K=01 for vector=1
v_perm_b32 v[vgprPackTemp], v[vgprValuB_X1_I0_D3+0], v[vgprValuB_X1_I0_D2+0], s[sgprPackKForV1] // select K=23 for vector=1
_v_lshl_or_b32 v[vgprValuB_X1_I0+2], v[vgprPackTemp], 0x10, v[vgprValuB_X1_I0+2] // pack two half Vgpr to one Vgpr
v_perm_b32 v[vgprValuB_X1_I0+3], v[vgprValuB_X1_I0_D5+0], v[vgprValuB_X1_I0_D4+0], s[sgprPackKForV1] // select K=45 for vector=1
v_perm_b32 v[vgprPackTemp], v[vgprValuB_X1_I0_D7+0], v[vgprValuB_X1_I0_D6+0], s[sgprPackKForV1] // select K=67 for vector=1
_v_lshl_or_b32 v[vgprValuB_X1_I0+3], v[vgprPackTemp], 0x10, v[vgprValuB_X1_I0+3] // pack two half Vgpr to one Vgpr
v_mfma_f32_16x16x32_bf8_fp8 a[28+0:31+0], v[vgprValuB_X1_I0+0+0+0:vgprValuB_X1_I0+0+0+0+1], v[vgprValuA_X1_I0+14+0+0:vgprValuA_X1_I0+14+0+0+1], a[28:31]
/*  mfmaIndex:72  */
/* pack scheduling: packAIdx:48, packBIdx:12 */
v_perm_b32 v[vgprValuB_X1_I0+4], v[vgprValuB_X1_I0_D1+0], v[vgprValuB_X1_I0_D0+0], s[sgprPackKForV2] // select K=01 for vector=2
v_perm_b32 v[vgprPackTemp], v[vgprValuB_X1_I0_D3+0], v[vgprValuB_X1_I0_D2+0], s[sgprPackKForV2] // select K=23 for vector=2
_v_lshl_or_b32 v[vgprValuB_X1_I0+4], v[vgprPackTemp], 0x10, v[vgprValuB_X1_I0+4] // pack two half Vgpr to one Vgpr
v_perm_b32 v[vgprValuB_X1_I0+5], v[vgprValuB_X1_I0_D5+0], v[vgprValuB_X1_I0_D4+0], s[sgprPackKForV2] // select K=45 for vector=2
v_perm_b32 v[vgprPackTemp], v[vgprValuB_X1_I0_D7+0], v[vgprValuB_X1_I0_D6+0], s[sgprPackKForV2] // select K=67 for vector=2
_v_lshl_or_b32 v[vgprValuB_X1_I0+5], v[vgprPackTemp], 0x10, v[vgprValuB_X1_I0+5] // pack two half Vgpr to one Vgpr
v_mfma_f32_16x16x32_bf8_fp8 a[60+0:63+0], v[vgprValuB_X1_I0+2+0+0:vgprValuB_X1_I0+2+0+0+1], v[vgprValuA_X1_I0+14+0+0:vgprValuA_X1_I0+14+0+0+1], a[60:63]
/*  mfmaIndex:73  */
/* sched write - iter 1 writesPerItem=1 */
s_waitcnt vmcnt(0)                                 // lgkmcnt=-1 vmcnt=0wait for global read before writing to local
_ds_store_b128 v[vgprLocalWriteAddrA], v[vgprG2LA+4:vgprG2LA+4+3] offset:1024 // lwoA_0_0_1_0 = (0*LSCA) + (1*LSPA)(*MT0I+PAD) = 1024
/* pack scheduling: packAIdx:48, packBIdx:12 */
v_perm_b32 v[vgprValuB_X1_I0+6], v[vgprValuB_X1_I0_D1+0], v[vgprValuB_X1_I0_D0+0], s[sgprPackKForV3] // select K=01 for vector=3
v_perm_b32 v[vgprPackTemp], v[vgprValuB_X1_I0_D3+0], v[vgprValuB_X1_I0_D2+0], s[sgprPackKForV3] // select K=23 for vector=3
_v_lshl_or_b32 v[vgprValuB_X1_I0+6], v[vgprPackTemp], 0x10, v[vgprValuB_X1_I0+6] // pack two half Vgpr to one Vgpr
v_perm_b32 v[vgprValuB_X1_I0+7], v[vgprValuB_X1_I0_D5+0], v[vgprValuB_X1_I0_D4+0], s[sgprPackKForV3] // select K=45 for vector=3
v_perm_b32 v[vgprPackTemp], v[vgprValuB_X1_I0_D7+0], v[vgprValuB_X1_I0_D6+0], s[sgprPackKForV3] // select K=67 for vector=3
_v_lshl_or_b32 v[vgprValuB_X1_I0+7], v[vgprPackTemp], 0x10, v[vgprValuB_X1_I0+7] // pack two half Vgpr to one Vgpr
v_mfma_f32_16x16x32_bf8_fp8 a[56+0:59+0], v[vgprValuB_X1_I0+2+0+0:vgprValuB_X1_I0+2+0+0+1], v[vgprValuA_X1_I0+12+0+0:vgprValuA_X1_I0+12+0+0+1], a[56:59]
/*  mfmaIndex:74  */
_buffer_load_b128 v[vgprG2LA+4:vgprG2LA+4+3], v[vgprGlobalReadOffsetA+0], s[sgprSrdA:sgprSrdA+3], s[sgprScalarGlobalReadOffsetA+0], offen offset:0 // G -> Reg 0_0_1_0
/* pack scheduling: packAIdx:48, packBIdx:12 */
v_perm_b32 v[vgprValuB_X1_I0+8], v[vgprValuB_X1_I0_D1+1], v[vgprValuB_X1_I0_D0+1], s[sgprPackKForV0] // select K=01 for vector=0
v_perm_b32 v[vgprPackTemp], v[vgprValuB_X1_I0_D3+1], v[vgprValuB_X1_I0_D2+1], s[sgprPackKForV0] // select K=23 for vector=0
_v_lshl_or_b32 v[vgprValuB_X1_I0+8], v[vgprPackTemp], 0x10, v[vgprValuB_X1_I0+8] // pack two half Vgpr to one Vgpr
v_perm_b32 v[vgprValuB_X1_I0+9], v[vgprValuB_X1_I0_D5+1], v[vgprValuB_X1_I0_D4+1], s[sgprPackKForV0] // select K=45 for vector=0
v_perm_b32 v[vgprPackTemp], v[vgprValuB_X1_I0_D7+1], v[vgprValuB_X1_I0_D6+1], s[sgprPackKForV0] // select K=67 for vector=0
_v_lshl_or_b32 v[vgprValuB_X1_I0+9], v[vgprPackTemp], 0x10, v[vgprValuB_X1_I0+9] // pack two half Vgpr to one Vgpr
v_mfma_f32_16x16x32_bf8_fp8 a[52+0:55+0], v[vgprValuB_X1_I0+2+0+0:vgprValuB_X1_I0+2+0+0+1], v[vgprValuA_X1_I0+10+0+0:vgprValuA_X1_I0+10+0+0+1], a[52:55]
/*  mfmaIndex:75  */
/* pack scheduling: packAIdx:48, packBIdx:12 */
v_perm_b32 v[vgprValuB_X1_I0+10], v[vgprValuB_X1_I0_D1+1], v[vgprValuB_X1_I0_D0+1], s[sgprPackKForV1] // select K=01 for vector=1
v_perm_b32 v[vgprPackTemp], v[vgprValuB_X1_I0_D3+1], v[vgprValuB_X1_I0_D2+1], s[sgprPackKForV1] // select K=23 for vector=1
_v_lshl_or_b32 v[vgprValuB_X1_I0+10], v[vgprPackTemp], 0x10, v[vgprValuB_X1_I0+10] // pack two half Vgpr to one Vgpr
v_perm_b32 v[vgprValuB_X1_I0+11], v[vgprValuB_X1_I0_D5+1], v[vgprValuB_X1_I0_D4+1], s[sgprPackKForV1] // select K=45 for vector=1
v_perm_b32 v[vgprPackTemp], v[vgprValuB_X1_I0_D7+1], v[vgprValuB_X1_I0_D6+1], s[sgprPackKForV1] // select K=67 for vector=1
_v_lshl_or_b32 v[vgprValuB_X1_I0+11], v[vgprPackTemp], 0x10, v[vgprValuB_X1_I0+11] // pack two half Vgpr to one Vgpr
v_mfma_f32_16x16x32_bf8_fp8 a[48+0:51+0], v[vgprValuB_X1_I0+2+0+0:vgprValuB_X1_I0+2+0+0+1], v[vgprValuA_X1_I0+8+0+0:vgprValuA_X1_I0+8+0+0+1], a[48:51]
/*  mfmaIndex:76  */
/* pack scheduling: packAIdx:48, packBIdx:12 */
v_perm_b32 v[vgprValuB_X1_I0+12], v[vgprValuB_X1_I0_D1+1], v[vgprValuB_X1_I0_D0+1], s[sgprPackKForV2] // select K=01 for vector=2
v_perm_b32 v[vgprPackTemp], v[vgprValuB_X1_I0_D3+1], v[vgprValuB_X1_I0_D2+1], s[sgprPackKForV2] // select K=23 for vector=2
_v_lshl_or_b32 v[vgprValuB_X1_I0+12], v[vgprPackTemp], 0x10, v[vgprValuB_X1_I0+12] // pack two half Vgpr to one Vgpr
v_perm_b32 v[vgprValuB_X1_I0+13], v[vgprValuB_X1_I0_D5+1], v[vgprValuB_X1_I0_D4+1], s[sgprPackKForV2] // select K=45 for vector=2
v_perm_b32 v[vgprPackTemp], v[vgprValuB_X1_I0_D7+1], v[vgprValuB_X1_I0_D6+1], s[sgprPackKForV2] // select K=67 for vector=2
_v_lshl_or_b32 v[vgprValuB_X1_I0+13], v[vgprPackTemp], 0x10, v[vgprValuB_X1_I0+13] // pack two half Vgpr to one Vgpr
v_mfma_f32_16x16x32_bf8_fp8 a[44+0:47+0], v[vgprValuB_X1_I0+2+0+0:vgprValuB_X1_I0+2+0+0+1], v[vgprValuA_X1_I0+6+0+0:vgprValuA_X1_I0+6+0+0+1], a[44:47]
/*  mfmaIndex:77  */
/* pack scheduling: packAIdx:48, packBIdx:12 */
v_perm_b32 v[vgprValuB_X1_I0+14], v[vgprValuB_X1_I0_D1+1], v[vgprValuB_X1_I0_D0+1], s[sgprPackKForV3] // select K=01 for vector=3
v_perm_b32 v[vgprPackTemp], v[vgprValuB_X1_I0_D3+1], v[vgprValuB_X1_I0_D2+1], s[sgprPackKForV3] // select K=23 for vector=3
_v_lshl_or_b32 v[vgprValuB_X1_I0+14], v[vgprPackTemp], 0x10, v[vgprValuB_X1_I0+14] // pack two half Vgpr to one Vgpr
v_perm_b32 v[vgprValuB_X1_I0+15], v[vgprValuB_X1_I0_D5+1], v[vgprValuB_X1_I0_D4+1], s[sgprPackKForV3] // select K=45 for vector=3
v_perm_b32 v[vgprPackTemp], v[vgprValuB_X1_I0_D7+1], v[vgprValuB_X1_I0_D6+1], s[sgprPackKForV3] // select K=67 for vector=3
_v_lshl_or_b32 v[vgprValuB_X1_I0+15], v[vgprPackTemp], 0x10, v[vgprValuB_X1_I0+15] // pack two half Vgpr to one Vgpr
v_mfma_f32_16x16x32_bf8_fp8 a[40+0:43+0], v[vgprValuB_X1_I0+2+0+0:vgprValuB_X1_I0+2+0+0+1], v[vgprValuA_X1_I0+4+0+0:vgprValuA_X1_I0+4+0+0+1], a[40:43]
/*  mfmaIndex:78  */
v_mfma_f32_16x16x32_bf8_fp8 a[36+0:39+0], v[vgprValuB_X1_I0+2+0+0:vgprValuB_X1_I0+2+0+0+1], v[vgprValuA_X1_I0+2+0+0:vgprValuA_X1_I0+2+0+0+1], a[36:39]
/*  mfmaIndex:79  */
	;; [unrolled: 2-line block ×7, first 2 shown]
/* sched write - iter 1 writesPerItem=1 */
s_waitcnt vmcnt(0)                                 // lgkmcnt=-1 vmcnt=0wait for global read before writing to local
_ds_store_b128 v[vgprLocalWriteAddrA], v[vgprG2LA+8:vgprG2LA+8+3] offset:2048 // lwoA_0_0_2_0 = (0*LSCA) + (2*LSPA)(*MT0I+PAD) = 2048
v_mfma_f32_16x16x32_bf8_fp8 a[80+0:83+0], v[vgprValuB_X1_I0+4+0+0:vgprValuB_X1_I0+4+0+0+1], v[vgprValuA_X1_I0+8+0+0:vgprValuA_X1_I0+8+0+0+1], a[80:83]
/*  mfmaIndex:85  */
_buffer_load_b128 v[vgprG2LA+8:vgprG2LA+8+3], v[vgprGlobalReadOffsetA+0], s[sgprSrdA:sgprSrdA+3], s[sgprScalarGlobalReadOffsetA+1], offen offset:0 // G -> Reg 0_0_2_0
v_mfma_f32_16x16x32_bf8_fp8 a[84+0:87+0], v[vgprValuB_X1_I0+4+0+0:vgprValuB_X1_I0+4+0+0+1], v[vgprValuA_X1_I0+10+0+0:vgprValuA_X1_I0+10+0+0+1], a[84:87]
/*  mfmaIndex:86  */
v_mfma_f32_16x16x32_bf8_fp8 a[88+0:91+0], v[vgprValuB_X1_I0+4+0+0:vgprValuB_X1_I0+4+0+0+1], v[vgprValuA_X1_I0+12+0+0:vgprValuA_X1_I0+12+0+0+1], a[88:91]
/*  mfmaIndex:87  */
	;; [unrolled: 2-line block ×10, first 2 shown]
/* sched write - iter 1 writesPerItem=1 */
s_waitcnt vmcnt(0)                                 // lgkmcnt=-1 vmcnt=0wait for global read before writing to local
_ds_store_b128 v[vgprLocalWriteAddrA], v[vgprG2LA+12:vgprG2LA+12+3] offset:3072 // lwoA_0_0_3_0 = (0*LSCA) + (3*LSPA)(*MT0I+PAD) = 3072
v_mfma_f32_16x16x32_bf8_fp8 a[96+0:99+0], v[vgprValuB_X1_I0+6+0+0:vgprValuB_X1_I0+6+0+0+1], v[vgprValuA_X1_I0+0+0+0:vgprValuA_X1_I0+0+0+0+1], a[96:99]
/*  mfmaIndex:96  */
_buffer_load_b128 v[vgprG2LA+12:vgprG2LA+12+3], v[vgprGlobalReadOffsetA+0], s[sgprSrdA:sgprSrdA+3], s[sgprScalarGlobalReadOffsetA+2], offen offset:0 // G -> Reg 0_0_3_0
v_mfma_f32_16x16x32_bf8_fp8 a[128+0:131+0], v[vgprValuB_X1_I0+8+0+0:vgprValuB_X1_I0+8+0+0+1], v[vgprValuA_X1_I0+0+0+0:vgprValuA_X1_I0+0+0+0+1], a[128:131]
/*  mfmaIndex:97  */
v_mfma_f32_16x16x32_bf8_fp8 a[132+0:135+0], v[vgprValuB_X1_I0+8+0+0:vgprValuB_X1_I0+8+0+0+1], v[vgprValuA_X1_I0+2+0+0:vgprValuA_X1_I0+2+0+0+1], a[132:135]
/*  mfmaIndex:98  */
	;; [unrolled: 2-line block ×10, first 2 shown]
/* sched write - iter 1 writesPerItem=1 */
s_waitcnt vmcnt(0)                                 // lgkmcnt=-1 vmcnt=0wait for global read before writing to local
_ds_store_b128 v[vgprLocalWriteAddrA], v[vgprG2LA+16:vgprG2LA+16+3] offset:4096 // lwoA_0_0_4_0 = (0*LSCA) + (4*LSPA)(*MT0I+PAD) = 4096
v_mfma_f32_16x16x32_bf8_fp8 a[180+0:183+0], v[vgprValuB_X1_I0+10+0+0:vgprValuB_X1_I0+10+0+0+1], v[vgprValuA_X1_I0+10+0+0:vgprValuA_X1_I0+10+0+0+1], a[180:183]
/*  mfmaIndex:107  */
_buffer_load_b128 v[vgprG2LA+16:vgprG2LA+16+3], v[vgprGlobalReadOffsetA+0], s[sgprSrdA:sgprSrdA+3], s[sgprScalarGlobalReadOffsetA+3], offen offset:0 // G -> Reg 0_0_4_0
v_mfma_f32_16x16x32_bf8_fp8 a[176+0:179+0], v[vgprValuB_X1_I0+10+0+0:vgprValuB_X1_I0+10+0+0+1], v[vgprValuA_X1_I0+8+0+0:vgprValuA_X1_I0+8+0+0+1], a[176:179]
/*  mfmaIndex:108  */
v_mfma_f32_16x16x32_bf8_fp8 a[172+0:175+0], v[vgprValuB_X1_I0+10+0+0:vgprValuB_X1_I0+10+0+0+1], v[vgprValuA_X1_I0+6+0+0:vgprValuA_X1_I0+6+0+0+1], a[172:175]
/*  mfmaIndex:109  */
v_mfma_f32_16x16x32_bf8_fp8 a[168+0:171+0], v[vgprValuB_X1_I0+10+0+0:vgprValuB_X1_I0+10+0+0+1], v[vgprValuA_X1_I0+4+0+0:vgprValuA_X1_I0+4+0+0+1], a[168:171]
/*  mfmaIndex:110  */
v_mfma_f32_16x16x32_bf8_fp8 a[164+0:167+0], v[vgprValuB_X1_I0+10+0+0:vgprValuB_X1_I0+10+0+0+1], v[vgprValuA_X1_I0+2+0+0:vgprValuA_X1_I0+2+0+0+1], a[164:167]
/*  mfmaIndex:111  */
v_mfma_f32_16x16x32_bf8_fp8 a[160+0:163+0], v[vgprValuB_X1_I0+10+0+0:vgprValuB_X1_I0+10+0+0+1], v[vgprValuA_X1_I0+0+0+0:vgprValuA_X1_I0+0+0+0+1], a[160:163]
/*  mfmaIndex:112  */
v_mfma_f32_16x16x32_bf8_fp8 a[192+0:195+0], v[vgprValuB_X1_I0+12+0+0:vgprValuB_X1_I0+12+0+0+1], v[vgprValuA_X1_I0+0+0+0:vgprValuA_X1_I0+0+0+0+1], a[192:195]
/*  mfmaIndex:113  */
v_mfma_f32_16x16x32_bf8_fp8 a[196+0:199+0], v[vgprValuB_X1_I0+12+0+0:vgprValuB_X1_I0+12+0+0+1], v[vgprValuA_X1_I0+2+0+0:vgprValuA_X1_I0+2+0+0+1], a[196:199]
/*  mfmaIndex:114  */
v_mfma_f32_16x16x32_bf8_fp8 a[200+0:203+0], v[vgprValuB_X1_I0+12+0+0:vgprValuB_X1_I0+12+0+0+1], v[vgprValuA_X1_I0+4+0+0:vgprValuA_X1_I0+4+0+0+1], a[200:203]
/*  mfmaIndex:115  */
v_mfma_f32_16x16x32_bf8_fp8 a[204+0:207+0], v[vgprValuB_X1_I0+12+0+0:vgprValuB_X1_I0+12+0+0+1], v[vgprValuA_X1_I0+6+0+0:vgprValuA_X1_I0+6+0+0+1], a[204:207]
/*  mfmaIndex:116  */
v_mfma_f32_16x16x32_bf8_fp8 a[208+0:211+0], v[vgprValuB_X1_I0+12+0+0:vgprValuB_X1_I0+12+0+0+1], v[vgprValuA_X1_I0+8+0+0:vgprValuA_X1_I0+8+0+0+1], a[208:211]
/*  mfmaIndex:117  */
/* sched write - iter 1 writesPerItem=1 */
s_waitcnt vmcnt(0)                                 // lgkmcnt=-1 vmcnt=0wait for global read before writing to local
_ds_store_b128 v[vgprLocalWriteAddrA], v[vgprG2LA+20:vgprG2LA+20+3] offset:5120 // lwoA_0_0_5_0 = (0*LSCA) + (5*LSPA)(*MT0I+PAD) = 5120
v_mfma_f32_16x16x32_bf8_fp8 a[212+0:215+0], v[vgprValuB_X1_I0+12+0+0:vgprValuB_X1_I0+12+0+0+1], v[vgprValuA_X1_I0+10+0+0:vgprValuA_X1_I0+10+0+0+1], a[212:215]
/*  mfmaIndex:118  */
_buffer_load_b128 v[vgprG2LA+20:vgprG2LA+20+3], v[vgprGlobalReadOffsetA+0], s[sgprSrdA:sgprSrdA+3], s[sgprScalarGlobalReadOffsetA+4], offen offset:0 // G -> Reg 0_0_5_0
v_mfma_f32_16x16x32_bf8_fp8 a[216+0:219+0], v[vgprValuB_X1_I0+12+0+0:vgprValuB_X1_I0+12+0+0+1], v[vgprValuA_X1_I0+12+0+0:vgprValuA_X1_I0+12+0+0+1], a[216:219]
/*  mfmaIndex:119  */
v_mfma_f32_16x16x32_bf8_fp8 a[220+0:223+0], v[vgprValuB_X1_I0+12+0+0:vgprValuB_X1_I0+12+0+0+1], v[vgprValuA_X1_I0+14+0+0:vgprValuA_X1_I0+14+0+0+1], a[220:223]
/*  mfmaIndex:120  */
	;; [unrolled: 2-line block ×9, first 2 shown]
v_mfma_f32_16x16x32_bf8_fp8 a[224+0:227+0], v[vgprValuB_X1_I0+14+0+0:vgprValuB_X1_I0+14+0+0+1], v[vgprValuA_X1_I0+0+0+0:vgprValuA_X1_I0+0+0+0+1], a[224:227]


/* iter 2 (reset local read pointers iteration)  (swap local read pointers iteration)  */

/*  grEndMfmaIndex:12, lwStartMfmaIndex:62, lwEndMfmaIndex:229  */
/*  numMfmaForLR:21, barrierMfmaIndex:234, LocalWritePerMfma:0.090 */
/*  mfmaIndex:128  */
/* sched write - iter 2 writesPerItem=1 */
s_waitcnt vmcnt(0)                                 // lgkmcnt=-1 vmcnt=0wait for global read before writing to local
_ds_store_b128 v[vgprLocalWriteAddrA], v[vgprG2LA+24:vgprG2LA+24+3] offset:6144 // lwoA_0_0_6_0 = (0*LSCA) + (6*LSPA)(*MT0I+PAD) = 6144
/* pack scheduling: packAIdx:6, packBIdx:6 */
v_perm_b32 v[vgprValuA_X2_I0+0], v[vgprValuA_X2_I0_D1+0], v[vgprValuA_X2_I0_D0+0], s[sgprPackKForV0] // select K=01 for vector=0
v_perm_b32 v[vgprPackTemp], v[vgprValuA_X2_I0_D3+0], v[vgprValuA_X2_I0_D2+0], s[sgprPackKForV0] // select K=23 for vector=0
_v_lshl_or_b32 v[vgprValuA_X2_I0+0], v[vgprPackTemp], 0x10, v[vgprValuA_X2_I0+0] // pack two half Vgpr to one Vgpr
v_perm_b32 v[vgprValuA_X2_I0+1], v[vgprValuA_X2_I0_D5+0], v[vgprValuA_X2_I0_D4+0], s[sgprPackKForV0] // select K=45 for vector=0
v_perm_b32 v[vgprPackTemp], v[vgprValuA_X2_I0_D7+0], v[vgprValuA_X2_I0_D6+0], s[sgprPackKForV0] // select K=67 for vector=0
_v_lshl_or_b32 v[vgprValuA_X2_I0+1], v[vgprPackTemp], 0x10, v[vgprValuA_X2_I0+1] // pack two half Vgpr to one Vgpr
v_perm_b32 v[vgprValuB_X2_I0+0], v[vgprValuB_X2_I0_D1+0], v[vgprValuB_X2_I0_D0+0], s[sgprPackKForV0] // select K=01 for vector=0
v_perm_b32 v[vgprPackTemp], v[vgprValuB_X2_I0_D3+0], v[vgprValuB_X2_I0_D2+0], s[sgprPackKForV0] // select K=23 for vector=0
_v_lshl_or_b32 v[vgprValuB_X2_I0+0], v[vgprPackTemp], 0x10, v[vgprValuB_X2_I0+0] // pack two half Vgpr to one Vgpr
v_perm_b32 v[vgprValuB_X2_I0+1], v[vgprValuB_X2_I0_D5+0], v[vgprValuB_X2_I0_D4+0], s[sgprPackKForV0] // select K=45 for vector=0
v_perm_b32 v[vgprPackTemp], v[vgprValuB_X2_I0_D7+0], v[vgprValuB_X2_I0_D6+0], s[sgprPackKForV0] // select K=67 for vector=0
_v_lshl_or_b32 v[vgprValuB_X2_I0+1], v[vgprPackTemp], 0x10, v[vgprValuB_X2_I0+1] // pack two half Vgpr to one Vgpr
v_perm_b32 v[vgprValuA_X2_I0+2], v[vgprValuA_X2_I0_D1+0], v[vgprValuA_X2_I0_D0+0], s[sgprPackKForV1] // select K=01 for vector=1
v_perm_b32 v[vgprPackTemp], v[vgprValuA_X2_I0_D3+0], v[vgprValuA_X2_I0_D2+0], s[sgprPackKForV1] // select K=23 for vector=1
_v_lshl_or_b32 v[vgprValuA_X2_I0+2], v[vgprPackTemp], 0x10, v[vgprValuA_X2_I0+2] // pack two half Vgpr to one Vgpr
v_perm_b32 v[vgprValuA_X2_I0+3], v[vgprValuA_X2_I0_D5+0], v[vgprValuA_X2_I0_D4+0], s[sgprPackKForV1] // select K=45 for vector=1
v_perm_b32 v[vgprPackTemp], v[vgprValuA_X2_I0_D7+0], v[vgprValuA_X2_I0_D6+0], s[sgprPackKForV1] // select K=67 for vector=1
_v_lshl_or_b32 v[vgprValuA_X2_I0+3], v[vgprPackTemp], 0x10, v[vgprValuA_X2_I0+3] // pack two half Vgpr to one Vgpr
v_mfma_f32_16x16x32_bf8_fp8 a[0+0:3+0], v[vgprValuB_X2_I0+0+0+0:vgprValuB_X2_I0+0+0+0+1], v[vgprValuA_X2_I0+0+0+0:vgprValuA_X2_I0+0+0+0+1], a[0:3]
/*  mfmaIndex:129  */
_buffer_load_b128 v[vgprG2LA+24:vgprG2LA+24+3], v[vgprGlobalReadOffsetA+0], s[sgprSrdA:sgprSrdA+3], s[sgprScalarGlobalReadOffsetA+5], offen offset:0 // G -> Reg 0_0_6_0
/* pack scheduling: packAIdx:12, packBIdx:6 */
v_perm_b32 v[vgprValuA_X2_I0+4], v[vgprValuA_X2_I0_D1+0], v[vgprValuA_X2_I0_D0+0], s[sgprPackKForV2] // select K=01 for vector=2
v_perm_b32 v[vgprPackTemp], v[vgprValuA_X2_I0_D3+0], v[vgprValuA_X2_I0_D2+0], s[sgprPackKForV2] // select K=23 for vector=2
_v_lshl_or_b32 v[vgprValuA_X2_I0+4], v[vgprPackTemp], 0x10, v[vgprValuA_X2_I0+4] // pack two half Vgpr to one Vgpr
v_perm_b32 v[vgprValuA_X2_I0+5], v[vgprValuA_X2_I0_D5+0], v[vgprValuA_X2_I0_D4+0], s[sgprPackKForV2] // select K=45 for vector=2
v_perm_b32 v[vgprPackTemp], v[vgprValuA_X2_I0_D7+0], v[vgprValuA_X2_I0_D6+0], s[sgprPackKForV2] // select K=67 for vector=2
_v_lshl_or_b32 v[vgprValuA_X2_I0+5], v[vgprPackTemp], 0x10, v[vgprValuA_X2_I0+5] // pack two half Vgpr to one Vgpr
v_mfma_f32_16x16x32_bf8_fp8 a[4+0:7+0], v[vgprValuB_X2_I0+0+0+0:vgprValuB_X2_I0+0+0+0+1], v[vgprValuA_X2_I0+2+0+0:vgprValuA_X2_I0+2+0+0+1], a[4:7]
/*  mfmaIndex:130  */
/* pack scheduling: packAIdx:18, packBIdx:6 */
v_perm_b32 v[vgprValuA_X2_I0+6], v[vgprValuA_X2_I0_D1+0], v[vgprValuA_X2_I0_D0+0], s[sgprPackKForV3] // select K=01 for vector=3
v_perm_b32 v[vgprPackTemp], v[vgprValuA_X2_I0_D3+0], v[vgprValuA_X2_I0_D2+0], s[sgprPackKForV3] // select K=23 for vector=3
_v_lshl_or_b32 v[vgprValuA_X2_I0+6], v[vgprPackTemp], 0x10, v[vgprValuA_X2_I0+6] // pack two half Vgpr to one Vgpr
v_perm_b32 v[vgprValuA_X2_I0+7], v[vgprValuA_X2_I0_D5+0], v[vgprValuA_X2_I0_D4+0], s[sgprPackKForV3] // select K=45 for vector=3
v_perm_b32 v[vgprPackTemp], v[vgprValuA_X2_I0_D7+0], v[vgprValuA_X2_I0_D6+0], s[sgprPackKForV3] // select K=67 for vector=3
_v_lshl_or_b32 v[vgprValuA_X2_I0+7], v[vgprPackTemp], 0x10, v[vgprValuA_X2_I0+7] // pack two half Vgpr to one Vgpr
v_mfma_f32_16x16x32_bf8_fp8 a[8+0:11+0], v[vgprValuB_X2_I0+0+0+0:vgprValuB_X2_I0+0+0+0+1], v[vgprValuA_X2_I0+4+0+0:vgprValuA_X2_I0+4+0+0+1], a[8:11]
/*  mfmaIndex:131  */
/* pack scheduling: packAIdx:24, packBIdx:6 */
v_perm_b32 v[vgprValuA_X2_I0+8], v[vgprValuA_X2_I0_D1+1], v[vgprValuA_X2_I0_D0+1], s[sgprPackKForV0] // select K=01 for vector=0
v_perm_b32 v[vgprPackTemp], v[vgprValuA_X2_I0_D3+1], v[vgprValuA_X2_I0_D2+1], s[sgprPackKForV0] // select K=23 for vector=0
_v_lshl_or_b32 v[vgprValuA_X2_I0+8], v[vgprPackTemp], 0x10, v[vgprValuA_X2_I0+8] // pack two half Vgpr to one Vgpr
v_perm_b32 v[vgprValuA_X2_I0+9], v[vgprValuA_X2_I0_D5+1], v[vgprValuA_X2_I0_D4+1], s[sgprPackKForV0] // select K=45 for vector=0
v_perm_b32 v[vgprPackTemp], v[vgprValuA_X2_I0_D7+1], v[vgprValuA_X2_I0_D6+1], s[sgprPackKForV0] // select K=67 for vector=0
_v_lshl_or_b32 v[vgprValuA_X2_I0+9], v[vgprPackTemp], 0x10, v[vgprValuA_X2_I0+9] // pack two half Vgpr to one Vgpr
v_mfma_f32_16x16x32_bf8_fp8 a[12+0:15+0], v[vgprValuB_X2_I0+0+0+0:vgprValuB_X2_I0+0+0+0+1], v[vgprValuA_X2_I0+6+0+0:vgprValuA_X2_I0+6+0+0+1], a[12:15]
/*  mfmaIndex:132  */
/* pack scheduling: packAIdx:30, packBIdx:6 */
v_perm_b32 v[vgprValuA_X2_I0+10], v[vgprValuA_X2_I0_D1+1], v[vgprValuA_X2_I0_D0+1], s[sgprPackKForV1] // select K=01 for vector=1
v_perm_b32 v[vgprPackTemp], v[vgprValuA_X2_I0_D3+1], v[vgprValuA_X2_I0_D2+1], s[sgprPackKForV1] // select K=23 for vector=1
_v_lshl_or_b32 v[vgprValuA_X2_I0+10], v[vgprPackTemp], 0x10, v[vgprValuA_X2_I0+10] // pack two half Vgpr to one Vgpr
v_perm_b32 v[vgprValuA_X2_I0+11], v[vgprValuA_X2_I0_D5+1], v[vgprValuA_X2_I0_D4+1], s[sgprPackKForV1] // select K=45 for vector=1
v_perm_b32 v[vgprPackTemp], v[vgprValuA_X2_I0_D7+1], v[vgprValuA_X2_I0_D6+1], s[sgprPackKForV1] // select K=67 for vector=1
_v_lshl_or_b32 v[vgprValuA_X2_I0+11], v[vgprPackTemp], 0x10, v[vgprValuA_X2_I0+11] // pack two half Vgpr to one Vgpr
v_mfma_f32_16x16x32_bf8_fp8 a[16+0:19+0], v[vgprValuB_X2_I0+0+0+0:vgprValuB_X2_I0+0+0+0+1], v[vgprValuA_X2_I0+8+0+0:vgprValuA_X2_I0+8+0+0+1], a[16:19]
/*  mfmaIndex:133  */
/* pack scheduling: packAIdx:36, packBIdx:6 */
v_perm_b32 v[vgprValuA_X2_I0+12], v[vgprValuA_X2_I0_D1+1], v[vgprValuA_X2_I0_D0+1], s[sgprPackKForV2] // select K=01 for vector=2
v_perm_b32 v[vgprPackTemp], v[vgprValuA_X2_I0_D3+1], v[vgprValuA_X2_I0_D2+1], s[sgprPackKForV2] // select K=23 for vector=2
_v_lshl_or_b32 v[vgprValuA_X2_I0+12], v[vgprPackTemp], 0x10, v[vgprValuA_X2_I0+12] // pack two half Vgpr to one Vgpr
v_perm_b32 v[vgprValuA_X2_I0+13], v[vgprValuA_X2_I0_D5+1], v[vgprValuA_X2_I0_D4+1], s[sgprPackKForV2] // select K=45 for vector=2
v_perm_b32 v[vgprPackTemp], v[vgprValuA_X2_I0_D7+1], v[vgprValuA_X2_I0_D6+1], s[sgprPackKForV2] // select K=67 for vector=2
_v_lshl_or_b32 v[vgprValuA_X2_I0+13], v[vgprPackTemp], 0x10, v[vgprValuA_X2_I0+13] // pack two half Vgpr to one Vgpr
v_mfma_f32_16x16x32_bf8_fp8 a[20+0:23+0], v[vgprValuB_X2_I0+0+0+0:vgprValuB_X2_I0+0+0+0+1], v[vgprValuA_X2_I0+10+0+0:vgprValuA_X2_I0+10+0+0+1], a[20:23]
/*  mfmaIndex:134  */
/* pack scheduling: packAIdx:42, packBIdx:6 */
v_perm_b32 v[vgprValuA_X2_I0+14], v[vgprValuA_X2_I0_D1+1], v[vgprValuA_X2_I0_D0+1], s[sgprPackKForV3] // select K=01 for vector=3
v_perm_b32 v[vgprPackTemp], v[vgprValuA_X2_I0_D3+1], v[vgprValuA_X2_I0_D2+1], s[sgprPackKForV3] // select K=23 for vector=3
_v_lshl_or_b32 v[vgprValuA_X2_I0+14], v[vgprPackTemp], 0x10, v[vgprValuA_X2_I0+14] // pack two half Vgpr to one Vgpr
v_perm_b32 v[vgprValuA_X2_I0+15], v[vgprValuA_X2_I0_D5+1], v[vgprValuA_X2_I0_D4+1], s[sgprPackKForV3] // select K=45 for vector=3
v_perm_b32 v[vgprPackTemp], v[vgprValuA_X2_I0_D7+1], v[vgprValuA_X2_I0_D6+1], s[sgprPackKForV3] // select K=67 for vector=3
_v_lshl_or_b32 v[vgprValuA_X2_I0+15], v[vgprPackTemp], 0x10, v[vgprValuA_X2_I0+15] // pack two half Vgpr to one Vgpr
v_mfma_f32_16x16x32_bf8_fp8 a[24+0:27+0], v[vgprValuB_X2_I0+0+0+0:vgprValuB_X2_I0+0+0+0+1], v[vgprValuA_X2_I0+12+0+0:vgprValuA_X2_I0+12+0+0+1], a[24:27]
/*  mfmaIndex:135  */
/* pack scheduling: packAIdx:48, packBIdx:6 */
v_perm_b32 v[vgprValuB_X2_I0+2], v[vgprValuB_X2_I0_D1+0], v[vgprValuB_X2_I0_D0+0], s[sgprPackKForV1] // select K=01 for vector=1
v_perm_b32 v[vgprPackTemp], v[vgprValuB_X2_I0_D3+0], v[vgprValuB_X2_I0_D2+0], s[sgprPackKForV1] // select K=23 for vector=1
_v_lshl_or_b32 v[vgprValuB_X2_I0+2], v[vgprPackTemp], 0x10, v[vgprValuB_X2_I0+2] // pack two half Vgpr to one Vgpr
v_perm_b32 v[vgprValuB_X2_I0+3], v[vgprValuB_X2_I0_D5+0], v[vgprValuB_X2_I0_D4+0], s[sgprPackKForV1] // select K=45 for vector=1
v_perm_b32 v[vgprPackTemp], v[vgprValuB_X2_I0_D7+0], v[vgprValuB_X2_I0_D6+0], s[sgprPackKForV1] // select K=67 for vector=1
_v_lshl_or_b32 v[vgprValuB_X2_I0+3], v[vgprPackTemp], 0x10, v[vgprValuB_X2_I0+3] // pack two half Vgpr to one Vgpr
v_mfma_f32_16x16x32_bf8_fp8 a[28+0:31+0], v[vgprValuB_X2_I0+0+0+0:vgprValuB_X2_I0+0+0+0+1], v[vgprValuA_X2_I0+14+0+0:vgprValuA_X2_I0+14+0+0+1], a[28:31]
/*  mfmaIndex:136  */
/* pack scheduling: packAIdx:48, packBIdx:12 */
v_perm_b32 v[vgprValuB_X2_I0+4], v[vgprValuB_X2_I0_D1+0], v[vgprValuB_X2_I0_D0+0], s[sgprPackKForV2] // select K=01 for vector=2
v_perm_b32 v[vgprPackTemp], v[vgprValuB_X2_I0_D3+0], v[vgprValuB_X2_I0_D2+0], s[sgprPackKForV2] // select K=23 for vector=2
_v_lshl_or_b32 v[vgprValuB_X2_I0+4], v[vgprPackTemp], 0x10, v[vgprValuB_X2_I0+4] // pack two half Vgpr to one Vgpr
v_perm_b32 v[vgprValuB_X2_I0+5], v[vgprValuB_X2_I0_D5+0], v[vgprValuB_X2_I0_D4+0], s[sgprPackKForV2] // select K=45 for vector=2
v_perm_b32 v[vgprPackTemp], v[vgprValuB_X2_I0_D7+0], v[vgprValuB_X2_I0_D6+0], s[sgprPackKForV2] // select K=67 for vector=2
_v_lshl_or_b32 v[vgprValuB_X2_I0+5], v[vgprPackTemp], 0x10, v[vgprValuB_X2_I0+5] // pack two half Vgpr to one Vgpr
v_mfma_f32_16x16x32_bf8_fp8 a[60+0:63+0], v[vgprValuB_X2_I0+2+0+0:vgprValuB_X2_I0+2+0+0+1], v[vgprValuA_X2_I0+14+0+0:vgprValuA_X2_I0+14+0+0+1], a[60:63]
/*  mfmaIndex:137  */
/* pack scheduling: packAIdx:48, packBIdx:12 */
v_perm_b32 v[vgprValuB_X2_I0+6], v[vgprValuB_X2_I0_D1+0], v[vgprValuB_X2_I0_D0+0], s[sgprPackKForV3] // select K=01 for vector=3
v_perm_b32 v[vgprPackTemp], v[vgprValuB_X2_I0_D3+0], v[vgprValuB_X2_I0_D2+0], s[sgprPackKForV3] // select K=23 for vector=3
_v_lshl_or_b32 v[vgprValuB_X2_I0+6], v[vgprPackTemp], 0x10, v[vgprValuB_X2_I0+6] // pack two half Vgpr to one Vgpr
v_perm_b32 v[vgprValuB_X2_I0+7], v[vgprValuB_X2_I0_D5+0], v[vgprValuB_X2_I0_D4+0], s[sgprPackKForV3] // select K=45 for vector=3
v_perm_b32 v[vgprPackTemp], v[vgprValuB_X2_I0_D7+0], v[vgprValuB_X2_I0_D6+0], s[sgprPackKForV3] // select K=67 for vector=3
_v_lshl_or_b32 v[vgprValuB_X2_I0+7], v[vgprPackTemp], 0x10, v[vgprValuB_X2_I0+7] // pack two half Vgpr to one Vgpr
v_mfma_f32_16x16x32_bf8_fp8 a[56+0:59+0], v[vgprValuB_X2_I0+2+0+0:vgprValuB_X2_I0+2+0+0+1], v[vgprValuA_X2_I0+12+0+0:vgprValuA_X2_I0+12+0+0+1], a[56:59]
/*  mfmaIndex:138  */
/* pack scheduling: packAIdx:48, packBIdx:12 */
v_perm_b32 v[vgprValuB_X2_I0+8], v[vgprValuB_X2_I0_D1+1], v[vgprValuB_X2_I0_D0+1], s[sgprPackKForV0] // select K=01 for vector=0
v_perm_b32 v[vgprPackTemp], v[vgprValuB_X2_I0_D3+1], v[vgprValuB_X2_I0_D2+1], s[sgprPackKForV0] // select K=23 for vector=0
_v_lshl_or_b32 v[vgprValuB_X2_I0+8], v[vgprPackTemp], 0x10, v[vgprValuB_X2_I0+8] // pack two half Vgpr to one Vgpr
v_perm_b32 v[vgprValuB_X2_I0+9], v[vgprValuB_X2_I0_D5+1], v[vgprValuB_X2_I0_D4+1], s[sgprPackKForV0] // select K=45 for vector=0
v_perm_b32 v[vgprPackTemp], v[vgprValuB_X2_I0_D7+1], v[vgprValuB_X2_I0_D6+1], s[sgprPackKForV0] // select K=67 for vector=0
_v_lshl_or_b32 v[vgprValuB_X2_I0+9], v[vgprPackTemp], 0x10, v[vgprValuB_X2_I0+9] // pack two half Vgpr to one Vgpr
v_mfma_f32_16x16x32_bf8_fp8 a[52+0:55+0], v[vgprValuB_X2_I0+2+0+0:vgprValuB_X2_I0+2+0+0+1], v[vgprValuA_X2_I0+10+0+0:vgprValuA_X2_I0+10+0+0+1], a[52:55]
/*  mfmaIndex:139  */
/* sched write - iter 2 writesPerItem=1 */
s_waitcnt vmcnt(0)                                 // lgkmcnt=-1 vmcnt=0wait for global read before writing to local
_ds_store_b128 v[vgprLocalWriteAddrA], v[vgprG2LA+28:vgprG2LA+28+3] offset:7168 // lwoA_0_0_7_0 = (0*LSCA) + (7*LSPA)(*MT0I+PAD) = 7168
/* pack scheduling: packAIdx:48, packBIdx:12 */
v_perm_b32 v[vgprValuB_X2_I0+10], v[vgprValuB_X2_I0_D1+1], v[vgprValuB_X2_I0_D0+1], s[sgprPackKForV1] // select K=01 for vector=1
v_perm_b32 v[vgprPackTemp], v[vgprValuB_X2_I0_D3+1], v[vgprValuB_X2_I0_D2+1], s[sgprPackKForV1] // select K=23 for vector=1
_v_lshl_or_b32 v[vgprValuB_X2_I0+10], v[vgprPackTemp], 0x10, v[vgprValuB_X2_I0+10] // pack two half Vgpr to one Vgpr
v_perm_b32 v[vgprValuB_X2_I0+11], v[vgprValuB_X2_I0_D5+1], v[vgprValuB_X2_I0_D4+1], s[sgprPackKForV1] // select K=45 for vector=1
v_perm_b32 v[vgprPackTemp], v[vgprValuB_X2_I0_D7+1], v[vgprValuB_X2_I0_D6+1], s[sgprPackKForV1] // select K=67 for vector=1
_v_lshl_or_b32 v[vgprValuB_X2_I0+11], v[vgprPackTemp], 0x10, v[vgprValuB_X2_I0+11] // pack two half Vgpr to one Vgpr
v_mfma_f32_16x16x32_bf8_fp8 a[48+0:51+0], v[vgprValuB_X2_I0+2+0+0:vgprValuB_X2_I0+2+0+0+1], v[vgprValuA_X2_I0+8+0+0:vgprValuA_X2_I0+8+0+0+1], a[48:51]
/*  mfmaIndex:140  */
_buffer_load_b128 v[vgprG2LA+28:vgprG2LA+28+3], v[vgprGlobalReadOffsetA+0], s[sgprSrdA:sgprSrdA+3], s[sgprScalarGlobalReadOffsetA+6], offen offset:0 // G -> Reg 0_0_7_0
/* pack scheduling: packAIdx:48, packBIdx:12 */
v_perm_b32 v[vgprValuB_X2_I0+12], v[vgprValuB_X2_I0_D1+1], v[vgprValuB_X2_I0_D0+1], s[sgprPackKForV2] // select K=01 for vector=2
v_perm_b32 v[vgprPackTemp], v[vgprValuB_X2_I0_D3+1], v[vgprValuB_X2_I0_D2+1], s[sgprPackKForV2] // select K=23 for vector=2
_v_lshl_or_b32 v[vgprValuB_X2_I0+12], v[vgprPackTemp], 0x10, v[vgprValuB_X2_I0+12] // pack two half Vgpr to one Vgpr
v_perm_b32 v[vgprValuB_X2_I0+13], v[vgprValuB_X2_I0_D5+1], v[vgprValuB_X2_I0_D4+1], s[sgprPackKForV2] // select K=45 for vector=2
v_perm_b32 v[vgprPackTemp], v[vgprValuB_X2_I0_D7+1], v[vgprValuB_X2_I0_D6+1], s[sgprPackKForV2] // select K=67 for vector=2
_v_lshl_or_b32 v[vgprValuB_X2_I0+13], v[vgprPackTemp], 0x10, v[vgprValuB_X2_I0+13] // pack two half Vgpr to one Vgpr
v_mfma_f32_16x16x32_bf8_fp8 a[44+0:47+0], v[vgprValuB_X2_I0+2+0+0:vgprValuB_X2_I0+2+0+0+1], v[vgprValuA_X2_I0+6+0+0:vgprValuA_X2_I0+6+0+0+1], a[44:47]
/*  mfmaIndex:141  */
/* pack scheduling: packAIdx:48, packBIdx:12 */
v_perm_b32 v[vgprValuB_X2_I0+14], v[vgprValuB_X2_I0_D1+1], v[vgprValuB_X2_I0_D0+1], s[sgprPackKForV3] // select K=01 for vector=3
v_perm_b32 v[vgprPackTemp], v[vgprValuB_X2_I0_D3+1], v[vgprValuB_X2_I0_D2+1], s[sgprPackKForV3] // select K=23 for vector=3
_v_lshl_or_b32 v[vgprValuB_X2_I0+14], v[vgprPackTemp], 0x10, v[vgprValuB_X2_I0+14] // pack two half Vgpr to one Vgpr
v_perm_b32 v[vgprValuB_X2_I0+15], v[vgprValuB_X2_I0_D5+1], v[vgprValuB_X2_I0_D4+1], s[sgprPackKForV3] // select K=45 for vector=3
v_perm_b32 v[vgprPackTemp], v[vgprValuB_X2_I0_D7+1], v[vgprValuB_X2_I0_D6+1], s[sgprPackKForV3] // select K=67 for vector=3
_v_lshl_or_b32 v[vgprValuB_X2_I0+15], v[vgprPackTemp], 0x10, v[vgprValuB_X2_I0+15] // pack two half Vgpr to one Vgpr
v_mfma_f32_16x16x32_bf8_fp8 a[40+0:43+0], v[vgprValuB_X2_I0+2+0+0:vgprValuB_X2_I0+2+0+0+1], v[vgprValuA_X2_I0+4+0+0:vgprValuA_X2_I0+4+0+0+1], a[40:43]
/*  mfmaIndex:142  */
v_mfma_f32_16x16x32_bf8_fp8 a[36+0:39+0], v[vgprValuB_X2_I0+2+0+0:vgprValuB_X2_I0+2+0+0+1], v[vgprValuA_X2_I0+2+0+0:vgprValuA_X2_I0+2+0+0+1], a[36:39]
/*  mfmaIndex:143  */
	;; [unrolled: 2-line block ×9, first 2 shown]
/* sched write - iter 2 writesPerItem=1 */
s_waitcnt vmcnt(0)                                 // lgkmcnt=-1 vmcnt=0wait for global read before writing to local
_ds_store_b128 v[vgprLocalWriteAddrB], v[vgprG2LB+0:vgprG2LB+0+3] offset:0 // lwoB_0_0_0_0 = (0*LSCB) + (0*LSPB)(*MT1J+PAD) = 0
v_mfma_f32_16x16x32_bf8_fp8 a[88+0:91+0], v[vgprValuB_X2_I0+4+0+0:vgprValuB_X2_I0+4+0+0+1], v[vgprValuA_X2_I0+12+0+0:vgprValuA_X2_I0+12+0+0+1], a[88:91]
/*  mfmaIndex:151  */
_buffer_load_b128 v[vgprG2LB+0:vgprG2LB+0+3], v[vgprGlobalReadOffsetB+0], s[sgprSrdB:sgprSrdB+3], 0, offen offset:0 // G -> Reg 0_0_0_0
v_mfma_f32_16x16x32_bf8_fp8 a[92+0:95+0], v[vgprValuB_X2_I0+4+0+0:vgprValuB_X2_I0+4+0+0+1], v[vgprValuA_X2_I0+14+0+0:vgprValuA_X2_I0+14+0+0+1], a[92:95]
/*  mfmaIndex:152  */
v_mfma_f32_16x16x32_bf8_fp8 a[124+0:127+0], v[vgprValuB_X2_I0+6+0+0:vgprValuB_X2_I0+6+0+0+1], v[vgprValuA_X2_I0+14+0+0:vgprValuA_X2_I0+14+0+0+1], a[124:127]
/*  mfmaIndex:153  */
v_mfma_f32_16x16x32_bf8_fp8 a[120+0:123+0], v[vgprValuB_X2_I0+6+0+0:vgprValuB_X2_I0+6+0+0+1], v[vgprValuA_X2_I0+12+0+0:vgprValuA_X2_I0+12+0+0+1], a[120:123]
/*  mfmaIndex:154  */
v_mfma_f32_16x16x32_bf8_fp8 a[116+0:119+0], v[vgprValuB_X2_I0+6+0+0:vgprValuB_X2_I0+6+0+0+1], v[vgprValuA_X2_I0+10+0+0:vgprValuA_X2_I0+10+0+0+1], a[116:119]
/*  mfmaIndex:155  */
v_mfma_f32_16x16x32_bf8_fp8 a[112+0:115+0], v[vgprValuB_X2_I0+6+0+0:vgprValuB_X2_I0+6+0+0+1], v[vgprValuA_X2_I0+8+0+0:vgprValuA_X2_I0+8+0+0+1], a[112:115]
/*  mfmaIndex:156  */
v_mfma_f32_16x16x32_bf8_fp8 a[108+0:111+0], v[vgprValuB_X2_I0+6+0+0:vgprValuB_X2_I0+6+0+0+1], v[vgprValuA_X2_I0+6+0+0:vgprValuA_X2_I0+6+0+0+1], a[108:111]
/*  mfmaIndex:157  */
v_mfma_f32_16x16x32_bf8_fp8 a[104+0:107+0], v[vgprValuB_X2_I0+6+0+0:vgprValuB_X2_I0+6+0+0+1], v[vgprValuA_X2_I0+4+0+0:vgprValuA_X2_I0+4+0+0+1], a[104:107]
/*  mfmaIndex:158  */
v_mfma_f32_16x16x32_bf8_fp8 a[100+0:103+0], v[vgprValuB_X2_I0+6+0+0:vgprValuB_X2_I0+6+0+0+1], v[vgprValuA_X2_I0+2+0+0:vgprValuA_X2_I0+2+0+0+1], a[100:103]
/*  mfmaIndex:159  */
v_mfma_f32_16x16x32_bf8_fp8 a[96+0:99+0], v[vgprValuB_X2_I0+6+0+0:vgprValuB_X2_I0+6+0+0+1], v[vgprValuA_X2_I0+0+0+0:vgprValuA_X2_I0+0+0+0+1], a[96:99]
/*  mfmaIndex:160  */
v_mfma_f32_16x16x32_bf8_fp8 a[128+0:131+0], v[vgprValuB_X2_I0+8+0+0:vgprValuB_X2_I0+8+0+0+1], v[vgprValuA_X2_I0+0+0+0:vgprValuA_X2_I0+0+0+0+1], a[128:131]
/*  mfmaIndex:161  */
v_mfma_f32_16x16x32_bf8_fp8 a[132+0:135+0], v[vgprValuB_X2_I0+8+0+0:vgprValuB_X2_I0+8+0+0+1], v[vgprValuA_X2_I0+2+0+0:vgprValuA_X2_I0+2+0+0+1], a[132:135]
/*  mfmaIndex:162  */
/* sched write - iter 2 writesPerItem=1 */
s_waitcnt vmcnt(0)                                 // lgkmcnt=-1 vmcnt=0wait for global read before writing to local
_ds_store_b128 v[vgprLocalWriteAddrB], v[vgprG2LB+4:vgprG2LB+4+3] offset:1024 // lwoB_0_0_1_0 = (0*LSCB) + (1*LSPB)(*MT1J+PAD) = 1024
v_mfma_f32_16x16x32_bf8_fp8 a[136+0:139+0], v[vgprValuB_X2_I0+8+0+0:vgprValuB_X2_I0+8+0+0+1], v[vgprValuA_X2_I0+4+0+0:vgprValuA_X2_I0+4+0+0+1], a[136:139]
/*  mfmaIndex:163  */
_buffer_load_b128 v[vgprG2LB+4:vgprG2LB+4+3], v[vgprGlobalReadOffsetB+0], s[sgprSrdB:sgprSrdB+3], s[sgprScalarGlobalReadOffsetB+0], offen offset:0 // G -> Reg 0_0_1_0
v_mfma_f32_16x16x32_bf8_fp8 a[140+0:143+0], v[vgprValuB_X2_I0+8+0+0:vgprValuB_X2_I0+8+0+0+1], v[vgprValuA_X2_I0+6+0+0:vgprValuA_X2_I0+6+0+0+1], a[140:143]
/*  mfmaIndex:164  */
v_mfma_f32_16x16x32_bf8_fp8 a[144+0:147+0], v[vgprValuB_X2_I0+8+0+0:vgprValuB_X2_I0+8+0+0+1], v[vgprValuA_X2_I0+8+0+0:vgprValuA_X2_I0+8+0+0+1], a[144:147]
/*  mfmaIndex:165  */
	;; [unrolled: 2-line block ×10, first 2 shown]
/* sched write - iter 2 writesPerItem=1 */
s_waitcnt vmcnt(0)                                 // lgkmcnt=-1 vmcnt=0wait for global read before writing to local
_ds_store_b128 v[vgprLocalWriteAddrB], v[vgprG2LB+8:vgprG2LB+8+3] offset:2048 // lwoB_0_0_2_0 = (0*LSCB) + (2*LSPB)(*MT1J+PAD) = 2048
v_mfma_f32_16x16x32_bf8_fp8 a[168+0:171+0], v[vgprValuB_X2_I0+10+0+0:vgprValuB_X2_I0+10+0+0+1], v[vgprValuA_X2_I0+4+0+0:vgprValuA_X2_I0+4+0+0+1], a[168:171]
/*  mfmaIndex:174  */
_buffer_load_b128 v[vgprG2LB+8:vgprG2LB+8+3], v[vgprGlobalReadOffsetB+0], s[sgprSrdB:sgprSrdB+3], s[sgprScalarGlobalReadOffsetB+1], offen offset:0 // G -> Reg 0_0_2_0
v_mfma_f32_16x16x32_bf8_fp8 a[164+0:167+0], v[vgprValuB_X2_I0+10+0+0:vgprValuB_X2_I0+10+0+0+1], v[vgprValuA_X2_I0+2+0+0:vgprValuA_X2_I0+2+0+0+1], a[164:167]
/*  mfmaIndex:175  */
v_mfma_f32_16x16x32_bf8_fp8 a[160+0:163+0], v[vgprValuB_X2_I0+10+0+0:vgprValuB_X2_I0+10+0+0+1], v[vgprValuA_X2_I0+0+0+0:vgprValuA_X2_I0+0+0+0+1], a[160:163]
/*  mfmaIndex:176  */
	;; [unrolled: 2-line block ×10, first 2 shown]
/* sched write - iter 2 writesPerItem=1 */
s_waitcnt vmcnt(0)                                 // lgkmcnt=-1 vmcnt=0wait for global read before writing to local
_ds_store_b128 v[vgprLocalWriteAddrB], v[vgprG2LB+12:vgprG2LB+12+3] offset:3072 // lwoB_0_0_3_0 = (0*LSCB) + (3*LSPB)(*MT1J+PAD) = 3072
v_mfma_f32_16x16x32_bf8_fp8 a[252+0:255+0], v[vgprValuB_X2_I0+14+0+0:vgprValuB_X2_I0+14+0+0+1], v[vgprValuA_X2_I0+14+0+0:vgprValuA_X2_I0+14+0+0+1], a[252:255]
/*  mfmaIndex:185  */
_buffer_load_b128 v[vgprG2LB+12:vgprG2LB+12+3], v[vgprGlobalReadOffsetB+0], s[sgprSrdB:sgprSrdB+3], s[sgprScalarGlobalReadOffsetB+2], offen offset:0 // G -> Reg 0_0_3_0
v_mfma_f32_16x16x32_bf8_fp8 a[248+0:251+0], v[vgprValuB_X2_I0+14+0+0:vgprValuB_X2_I0+14+0+0+1], v[vgprValuA_X2_I0+12+0+0:vgprValuA_X2_I0+12+0+0+1], a[248:251]
/*  mfmaIndex:186  */
v_mfma_f32_16x16x32_bf8_fp8 a[244+0:247+0], v[vgprValuB_X2_I0+14+0+0:vgprValuB_X2_I0+14+0+0+1], v[vgprValuA_X2_I0+10+0+0:vgprValuA_X2_I0+10+0+0+1], a[244:247]
/*  mfmaIndex:187  */
v_mfma_f32_16x16x32_bf8_fp8 a[240+0:243+0], v[vgprValuB_X2_I0+14+0+0:vgprValuB_X2_I0+14+0+0+1], v[vgprValuA_X2_I0+8+0+0:vgprValuA_X2_I0+8+0+0+1], a[240:243]
/*  mfmaIndex:188  */
v_mfma_f32_16x16x32_bf8_fp8 a[236+0:239+0], v[vgprValuB_X2_I0+14+0+0:vgprValuB_X2_I0+14+0+0+1], v[vgprValuA_X2_I0+6+0+0:vgprValuA_X2_I0+6+0+0+1], a[236:239]
/*  mfmaIndex:189  */
v_mfma_f32_16x16x32_bf8_fp8 a[232+0:235+0], v[vgprValuB_X2_I0+14+0+0:vgprValuB_X2_I0+14+0+0+1], v[vgprValuA_X2_I0+4+0+0:vgprValuA_X2_I0+4+0+0+1], a[232:235]
/*  mfmaIndex:190  */
v_mfma_f32_16x16x32_bf8_fp8 a[228+0:231+0], v[vgprValuB_X2_I0+14+0+0:vgprValuB_X2_I0+14+0+0+1], v[vgprValuA_X2_I0+2+0+0:vgprValuA_X2_I0+2+0+0+1], a[228:231]
/*  mfmaIndex:191  */

/* local read swap offsets a */

/* local read swap offsets b */

/* local read init pointers a */

/* localReadInitPointers */

/* local read init pointers b */

/* localReadInitPointers */
v_mfma_f32_16x16x32_bf8_fp8 a[224+0:227+0], v[vgprValuB_X2_I0+14+0+0:vgprValuB_X2_I0+14+0+0+1], v[vgprValuA_X2_I0+0+0+0:vgprValuA_X2_I0+0+0+0+1], a[224:227]


/* iter 3 (swap and reset local write pointers iteration)  */

/*  grEndMfmaIndex:12, lwStartMfmaIndex:62, lwEndMfmaIndex:229  */
/*  numMfmaForLR:21, barrierMfmaIndex:234, LocalWritePerMfma:0.090 */
/*  mfmaIndex:192  */
/* pack scheduling: packAIdx:6, packBIdx:6 */
v_perm_b32 v[vgprValuA_X3_I0+0], v[vgprValuA_X3_I0_D1+0], v[vgprValuA_X3_I0_D0+0], s[sgprPackKForV0] // select K=01 for vector=0
v_perm_b32 v[vgprPackTemp], v[vgprValuA_X3_I0_D3+0], v[vgprValuA_X3_I0_D2+0], s[sgprPackKForV0] // select K=23 for vector=0
_v_lshl_or_b32 v[vgprValuA_X3_I0+0], v[vgprPackTemp], 0x10, v[vgprValuA_X3_I0+0] // pack two half Vgpr to one Vgpr
v_perm_b32 v[vgprValuA_X3_I0+1], v[vgprValuA_X3_I0_D5+0], v[vgprValuA_X3_I0_D4+0], s[sgprPackKForV0] // select K=45 for vector=0
v_perm_b32 v[vgprPackTemp], v[vgprValuA_X3_I0_D7+0], v[vgprValuA_X3_I0_D6+0], s[sgprPackKForV0] // select K=67 for vector=0
_v_lshl_or_b32 v[vgprValuA_X3_I0+1], v[vgprPackTemp], 0x10, v[vgprValuA_X3_I0+1] // pack two half Vgpr to one Vgpr
v_perm_b32 v[vgprValuB_X3_I0+0], v[vgprValuB_X3_I0_D1+0], v[vgprValuB_X3_I0_D0+0], s[sgprPackKForV0] // select K=01 for vector=0
v_perm_b32 v[vgprPackTemp], v[vgprValuB_X3_I0_D3+0], v[vgprValuB_X3_I0_D2+0], s[sgprPackKForV0] // select K=23 for vector=0
_v_lshl_or_b32 v[vgprValuB_X3_I0+0], v[vgprPackTemp], 0x10, v[vgprValuB_X3_I0+0] // pack two half Vgpr to one Vgpr
v_perm_b32 v[vgprValuB_X3_I0+1], v[vgprValuB_X3_I0_D5+0], v[vgprValuB_X3_I0_D4+0], s[sgprPackKForV0] // select K=45 for vector=0
v_perm_b32 v[vgprPackTemp], v[vgprValuB_X3_I0_D7+0], v[vgprValuB_X3_I0_D6+0], s[sgprPackKForV0] // select K=67 for vector=0
_v_lshl_or_b32 v[vgprValuB_X3_I0+1], v[vgprPackTemp], 0x10, v[vgprValuB_X3_I0+1] // pack two half Vgpr to one Vgpr
v_perm_b32 v[vgprValuA_X3_I0+2], v[vgprValuA_X3_I0_D1+0], v[vgprValuA_X3_I0_D0+0], s[sgprPackKForV1] // select K=01 for vector=1
v_perm_b32 v[vgprPackTemp], v[vgprValuA_X3_I0_D3+0], v[vgprValuA_X3_I0_D2+0], s[sgprPackKForV1] // select K=23 for vector=1
_v_lshl_or_b32 v[vgprValuA_X3_I0+2], v[vgprPackTemp], 0x10, v[vgprValuA_X3_I0+2] // pack two half Vgpr to one Vgpr
v_perm_b32 v[vgprValuA_X3_I0+3], v[vgprValuA_X3_I0_D5+0], v[vgprValuA_X3_I0_D4+0], s[sgprPackKForV1] // select K=45 for vector=1
v_perm_b32 v[vgprPackTemp], v[vgprValuA_X3_I0_D7+0], v[vgprValuA_X3_I0_D6+0], s[sgprPackKForV1] // select K=67 for vector=1
_v_lshl_or_b32 v[vgprValuA_X3_I0+3], v[vgprPackTemp], 0x10, v[vgprValuA_X3_I0+3] // pack two half Vgpr to one Vgpr
v_mfma_f32_16x16x32_bf8_fp8 a[0+0:3+0], v[vgprValuB_X3_I0+0+0+0:vgprValuB_X3_I0+0+0+0+1], v[vgprValuA_X3_I0+0+0+0:vgprValuA_X3_I0+0+0+0+1], a[0:3]
/*  mfmaIndex:193  */
/* pack scheduling: packAIdx:12, packBIdx:6 */
v_perm_b32 v[vgprValuA_X3_I0+4], v[vgprValuA_X3_I0_D1+0], v[vgprValuA_X3_I0_D0+0], s[sgprPackKForV2] // select K=01 for vector=2
v_perm_b32 v[vgprPackTemp], v[vgprValuA_X3_I0_D3+0], v[vgprValuA_X3_I0_D2+0], s[sgprPackKForV2] // select K=23 for vector=2
_v_lshl_or_b32 v[vgprValuA_X3_I0+4], v[vgprPackTemp], 0x10, v[vgprValuA_X3_I0+4] // pack two half Vgpr to one Vgpr
v_perm_b32 v[vgprValuA_X3_I0+5], v[vgprValuA_X3_I0_D5+0], v[vgprValuA_X3_I0_D4+0], s[sgprPackKForV2] // select K=45 for vector=2
v_perm_b32 v[vgprPackTemp], v[vgprValuA_X3_I0_D7+0], v[vgprValuA_X3_I0_D6+0], s[sgprPackKForV2] // select K=67 for vector=2
_v_lshl_or_b32 v[vgprValuA_X3_I0+5], v[vgprPackTemp], 0x10, v[vgprValuA_X3_I0+5] // pack two half Vgpr to one Vgpr
v_mfma_f32_16x16x32_bf8_fp8 a[4+0:7+0], v[vgprValuB_X3_I0+0+0+0:vgprValuB_X3_I0+0+0+0+1], v[vgprValuA_X3_I0+2+0+0:vgprValuA_X3_I0+2+0+0+1], a[4:7]
/*  mfmaIndex:194  */
/* pack scheduling: packAIdx:18, packBIdx:6 */
v_perm_b32 v[vgprValuA_X3_I0+6], v[vgprValuA_X3_I0_D1+0], v[vgprValuA_X3_I0_D0+0], s[sgprPackKForV3] // select K=01 for vector=3
v_perm_b32 v[vgprPackTemp], v[vgprValuA_X3_I0_D3+0], v[vgprValuA_X3_I0_D2+0], s[sgprPackKForV3] // select K=23 for vector=3
_v_lshl_or_b32 v[vgprValuA_X3_I0+6], v[vgprPackTemp], 0x10, v[vgprValuA_X3_I0+6] // pack two half Vgpr to one Vgpr
v_perm_b32 v[vgprValuA_X3_I0+7], v[vgprValuA_X3_I0_D5+0], v[vgprValuA_X3_I0_D4+0], s[sgprPackKForV3] // select K=45 for vector=3
v_perm_b32 v[vgprPackTemp], v[vgprValuA_X3_I0_D7+0], v[vgprValuA_X3_I0_D6+0], s[sgprPackKForV3] // select K=67 for vector=3
_v_lshl_or_b32 v[vgprValuA_X3_I0+7], v[vgprPackTemp], 0x10, v[vgprValuA_X3_I0+7] // pack two half Vgpr to one Vgpr
v_mfma_f32_16x16x32_bf8_fp8 a[8+0:11+0], v[vgprValuB_X3_I0+0+0+0:vgprValuB_X3_I0+0+0+0+1], v[vgprValuA_X3_I0+4+0+0:vgprValuA_X3_I0+4+0+0+1], a[8:11]
/*  mfmaIndex:195  */
/* sched write - iter 3 writesPerItem=1 */
s_waitcnt vmcnt(0)                                 // lgkmcnt=-1 vmcnt=0wait for global read before writing to local
_ds_store_b128 v[vgprLocalWriteAddrB], v[vgprG2LB+16:vgprG2LB+16+3] offset:4096 // lwoB_0_0_4_0 = (0*LSCB) + (4*LSPB)(*MT1J+PAD) = 4096
/* pack scheduling: packAIdx:24, packBIdx:6 */
v_perm_b32 v[vgprValuA_X3_I0+8], v[vgprValuA_X3_I0_D1+1], v[vgprValuA_X3_I0_D0+1], s[sgprPackKForV0] // select K=01 for vector=0
v_perm_b32 v[vgprPackTemp], v[vgprValuA_X3_I0_D3+1], v[vgprValuA_X3_I0_D2+1], s[sgprPackKForV0] // select K=23 for vector=0
_v_lshl_or_b32 v[vgprValuA_X3_I0+8], v[vgprPackTemp], 0x10, v[vgprValuA_X3_I0+8] // pack two half Vgpr to one Vgpr
v_perm_b32 v[vgprValuA_X3_I0+9], v[vgprValuA_X3_I0_D5+1], v[vgprValuA_X3_I0_D4+1], s[sgprPackKForV0] // select K=45 for vector=0
v_perm_b32 v[vgprPackTemp], v[vgprValuA_X3_I0_D7+1], v[vgprValuA_X3_I0_D6+1], s[sgprPackKForV0] // select K=67 for vector=0
_v_lshl_or_b32 v[vgprValuA_X3_I0+9], v[vgprPackTemp], 0x10, v[vgprValuA_X3_I0+9] // pack two half Vgpr to one Vgpr
v_mfma_f32_16x16x32_bf8_fp8 a[12+0:15+0], v[vgprValuB_X3_I0+0+0+0:vgprValuB_X3_I0+0+0+0+1], v[vgprValuA_X3_I0+6+0+0:vgprValuA_X3_I0+6+0+0+1], a[12:15]
/*  mfmaIndex:196  */
_buffer_load_b128 v[vgprG2LB+16:vgprG2LB+16+3], v[vgprGlobalReadOffsetB+0], s[sgprSrdB:sgprSrdB+3], s[sgprScalarGlobalReadOffsetB+3], offen offset:0 // G -> Reg 0_0_4_0
/* pack scheduling: packAIdx:30, packBIdx:6 */
v_perm_b32 v[vgprValuA_X3_I0+10], v[vgprValuA_X3_I0_D1+1], v[vgprValuA_X3_I0_D0+1], s[sgprPackKForV1] // select K=01 for vector=1
v_perm_b32 v[vgprPackTemp], v[vgprValuA_X3_I0_D3+1], v[vgprValuA_X3_I0_D2+1], s[sgprPackKForV1] // select K=23 for vector=1
_v_lshl_or_b32 v[vgprValuA_X3_I0+10], v[vgprPackTemp], 0x10, v[vgprValuA_X3_I0+10] // pack two half Vgpr to one Vgpr
v_perm_b32 v[vgprValuA_X3_I0+11], v[vgprValuA_X3_I0_D5+1], v[vgprValuA_X3_I0_D4+1], s[sgprPackKForV1] // select K=45 for vector=1
v_perm_b32 v[vgprPackTemp], v[vgprValuA_X3_I0_D7+1], v[vgprValuA_X3_I0_D6+1], s[sgprPackKForV1] // select K=67 for vector=1
_v_lshl_or_b32 v[vgprValuA_X3_I0+11], v[vgprPackTemp], 0x10, v[vgprValuA_X3_I0+11] // pack two half Vgpr to one Vgpr
v_mfma_f32_16x16x32_bf8_fp8 a[16+0:19+0], v[vgprValuB_X3_I0+0+0+0:vgprValuB_X3_I0+0+0+0+1], v[vgprValuA_X3_I0+8+0+0:vgprValuA_X3_I0+8+0+0+1], a[16:19]
/*  mfmaIndex:197  */
/* pack scheduling: packAIdx:36, packBIdx:6 */
v_perm_b32 v[vgprValuA_X3_I0+12], v[vgprValuA_X3_I0_D1+1], v[vgprValuA_X3_I0_D0+1], s[sgprPackKForV2] // select K=01 for vector=2
v_perm_b32 v[vgprPackTemp], v[vgprValuA_X3_I0_D3+1], v[vgprValuA_X3_I0_D2+1], s[sgprPackKForV2] // select K=23 for vector=2
_v_lshl_or_b32 v[vgprValuA_X3_I0+12], v[vgprPackTemp], 0x10, v[vgprValuA_X3_I0+12] // pack two half Vgpr to one Vgpr
v_perm_b32 v[vgprValuA_X3_I0+13], v[vgprValuA_X3_I0_D5+1], v[vgprValuA_X3_I0_D4+1], s[sgprPackKForV2] // select K=45 for vector=2
v_perm_b32 v[vgprPackTemp], v[vgprValuA_X3_I0_D7+1], v[vgprValuA_X3_I0_D6+1], s[sgprPackKForV2] // select K=67 for vector=2
_v_lshl_or_b32 v[vgprValuA_X3_I0+13], v[vgprPackTemp], 0x10, v[vgprValuA_X3_I0+13] // pack two half Vgpr to one Vgpr
v_mfma_f32_16x16x32_bf8_fp8 a[20+0:23+0], v[vgprValuB_X3_I0+0+0+0:vgprValuB_X3_I0+0+0+0+1], v[vgprValuA_X3_I0+10+0+0:vgprValuA_X3_I0+10+0+0+1], a[20:23]
/*  mfmaIndex:198  */
/* pack scheduling: packAIdx:42, packBIdx:6 */
v_perm_b32 v[vgprValuA_X3_I0+14], v[vgprValuA_X3_I0_D1+1], v[vgprValuA_X3_I0_D0+1], s[sgprPackKForV3] // select K=01 for vector=3
v_perm_b32 v[vgprPackTemp], v[vgprValuA_X3_I0_D3+1], v[vgprValuA_X3_I0_D2+1], s[sgprPackKForV3] // select K=23 for vector=3
_v_lshl_or_b32 v[vgprValuA_X3_I0+14], v[vgprPackTemp], 0x10, v[vgprValuA_X3_I0+14] // pack two half Vgpr to one Vgpr
v_perm_b32 v[vgprValuA_X3_I0+15], v[vgprValuA_X3_I0_D5+1], v[vgprValuA_X3_I0_D4+1], s[sgprPackKForV3] // select K=45 for vector=3
v_perm_b32 v[vgprPackTemp], v[vgprValuA_X3_I0_D7+1], v[vgprValuA_X3_I0_D6+1], s[sgprPackKForV3] // select K=67 for vector=3
_v_lshl_or_b32 v[vgprValuA_X3_I0+15], v[vgprPackTemp], 0x10, v[vgprValuA_X3_I0+15] // pack two half Vgpr to one Vgpr
v_mfma_f32_16x16x32_bf8_fp8 a[24+0:27+0], v[vgprValuB_X3_I0+0+0+0:vgprValuB_X3_I0+0+0+0+1], v[vgprValuA_X3_I0+12+0+0:vgprValuA_X3_I0+12+0+0+1], a[24:27]
/*  mfmaIndex:199  */
/* pack scheduling: packAIdx:48, packBIdx:6 */
v_perm_b32 v[vgprValuB_X3_I0+2], v[vgprValuB_X3_I0_D1+0], v[vgprValuB_X3_I0_D0+0], s[sgprPackKForV1] // select K=01 for vector=1
v_perm_b32 v[vgprPackTemp], v[vgprValuB_X3_I0_D3+0], v[vgprValuB_X3_I0_D2+0], s[sgprPackKForV1] // select K=23 for vector=1
_v_lshl_or_b32 v[vgprValuB_X3_I0+2], v[vgprPackTemp], 0x10, v[vgprValuB_X3_I0+2] // pack two half Vgpr to one Vgpr
v_perm_b32 v[vgprValuB_X3_I0+3], v[vgprValuB_X3_I0_D5+0], v[vgprValuB_X3_I0_D4+0], s[sgprPackKForV1] // select K=45 for vector=1
v_perm_b32 v[vgprPackTemp], v[vgprValuB_X3_I0_D7+0], v[vgprValuB_X3_I0_D6+0], s[sgprPackKForV1] // select K=67 for vector=1
_v_lshl_or_b32 v[vgprValuB_X3_I0+3], v[vgprPackTemp], 0x10, v[vgprValuB_X3_I0+3] // pack two half Vgpr to one Vgpr
v_mfma_f32_16x16x32_bf8_fp8 a[28+0:31+0], v[vgprValuB_X3_I0+0+0+0:vgprValuB_X3_I0+0+0+0+1], v[vgprValuA_X3_I0+14+0+0:vgprValuA_X3_I0+14+0+0+1], a[28:31]
/*  mfmaIndex:200  */
/* pack scheduling: packAIdx:48, packBIdx:12 */
v_perm_b32 v[vgprValuB_X3_I0+4], v[vgprValuB_X3_I0_D1+0], v[vgprValuB_X3_I0_D0+0], s[sgprPackKForV2] // select K=01 for vector=2
v_perm_b32 v[vgprPackTemp], v[vgprValuB_X3_I0_D3+0], v[vgprValuB_X3_I0_D2+0], s[sgprPackKForV2] // select K=23 for vector=2
_v_lshl_or_b32 v[vgprValuB_X3_I0+4], v[vgprPackTemp], 0x10, v[vgprValuB_X3_I0+4] // pack two half Vgpr to one Vgpr
v_perm_b32 v[vgprValuB_X3_I0+5], v[vgprValuB_X3_I0_D5+0], v[vgprValuB_X3_I0_D4+0], s[sgprPackKForV2] // select K=45 for vector=2
v_perm_b32 v[vgprPackTemp], v[vgprValuB_X3_I0_D7+0], v[vgprValuB_X3_I0_D6+0], s[sgprPackKForV2] // select K=67 for vector=2
_v_lshl_or_b32 v[vgprValuB_X3_I0+5], v[vgprPackTemp], 0x10, v[vgprValuB_X3_I0+5] // pack two half Vgpr to one Vgpr
v_mfma_f32_16x16x32_bf8_fp8 a[60+0:63+0], v[vgprValuB_X3_I0+2+0+0:vgprValuB_X3_I0+2+0+0+1], v[vgprValuA_X3_I0+14+0+0:vgprValuA_X3_I0+14+0+0+1], a[60:63]
/*  mfmaIndex:201  */
/* pack scheduling: packAIdx:48, packBIdx:12 */
v_perm_b32 v[vgprValuB_X3_I0+6], v[vgprValuB_X3_I0_D1+0], v[vgprValuB_X3_I0_D0+0], s[sgprPackKForV3] // select K=01 for vector=3
v_perm_b32 v[vgprPackTemp], v[vgprValuB_X3_I0_D3+0], v[vgprValuB_X3_I0_D2+0], s[sgprPackKForV3] // select K=23 for vector=3
_v_lshl_or_b32 v[vgprValuB_X3_I0+6], v[vgprPackTemp], 0x10, v[vgprValuB_X3_I0+6] // pack two half Vgpr to one Vgpr
v_perm_b32 v[vgprValuB_X3_I0+7], v[vgprValuB_X3_I0_D5+0], v[vgprValuB_X3_I0_D4+0], s[sgprPackKForV3] // select K=45 for vector=3
v_perm_b32 v[vgprPackTemp], v[vgprValuB_X3_I0_D7+0], v[vgprValuB_X3_I0_D6+0], s[sgprPackKForV3] // select K=67 for vector=3
_v_lshl_or_b32 v[vgprValuB_X3_I0+7], v[vgprPackTemp], 0x10, v[vgprValuB_X3_I0+7] // pack two half Vgpr to one Vgpr
v_mfma_f32_16x16x32_bf8_fp8 a[56+0:59+0], v[vgprValuB_X3_I0+2+0+0:vgprValuB_X3_I0+2+0+0+1], v[vgprValuA_X3_I0+12+0+0:vgprValuA_X3_I0+12+0+0+1], a[56:59]
/*  mfmaIndex:202  */
/* pack scheduling: packAIdx:48, packBIdx:12 */
v_perm_b32 v[vgprValuB_X3_I0+8], v[vgprValuB_X3_I0_D1+1], v[vgprValuB_X3_I0_D0+1], s[sgprPackKForV0] // select K=01 for vector=0
v_perm_b32 v[vgprPackTemp], v[vgprValuB_X3_I0_D3+1], v[vgprValuB_X3_I0_D2+1], s[sgprPackKForV0] // select K=23 for vector=0
_v_lshl_or_b32 v[vgprValuB_X3_I0+8], v[vgprPackTemp], 0x10, v[vgprValuB_X3_I0+8] // pack two half Vgpr to one Vgpr
v_perm_b32 v[vgprValuB_X3_I0+9], v[vgprValuB_X3_I0_D5+1], v[vgprValuB_X3_I0_D4+1], s[sgprPackKForV0] // select K=45 for vector=0
v_perm_b32 v[vgprPackTemp], v[vgprValuB_X3_I0_D7+1], v[vgprValuB_X3_I0_D6+1], s[sgprPackKForV0] // select K=67 for vector=0
_v_lshl_or_b32 v[vgprValuB_X3_I0+9], v[vgprPackTemp], 0x10, v[vgprValuB_X3_I0+9] // pack two half Vgpr to one Vgpr
v_mfma_f32_16x16x32_bf8_fp8 a[52+0:55+0], v[vgprValuB_X3_I0+2+0+0:vgprValuB_X3_I0+2+0+0+1], v[vgprValuA_X3_I0+10+0+0:vgprValuA_X3_I0+10+0+0+1], a[52:55]
/*  mfmaIndex:203  */
/* pack scheduling: packAIdx:48, packBIdx:12 */
v_perm_b32 v[vgprValuB_X3_I0+10], v[vgprValuB_X3_I0_D1+1], v[vgprValuB_X3_I0_D0+1], s[sgprPackKForV1] // select K=01 for vector=1
v_perm_b32 v[vgprPackTemp], v[vgprValuB_X3_I0_D3+1], v[vgprValuB_X3_I0_D2+1], s[sgprPackKForV1] // select K=23 for vector=1
_v_lshl_or_b32 v[vgprValuB_X3_I0+10], v[vgprPackTemp], 0x10, v[vgprValuB_X3_I0+10] // pack two half Vgpr to one Vgpr
v_perm_b32 v[vgprValuB_X3_I0+11], v[vgprValuB_X3_I0_D5+1], v[vgprValuB_X3_I0_D4+1], s[sgprPackKForV1] // select K=45 for vector=1
v_perm_b32 v[vgprPackTemp], v[vgprValuB_X3_I0_D7+1], v[vgprValuB_X3_I0_D6+1], s[sgprPackKForV1] // select K=67 for vector=1
_v_lshl_or_b32 v[vgprValuB_X3_I0+11], v[vgprPackTemp], 0x10, v[vgprValuB_X3_I0+11] // pack two half Vgpr to one Vgpr
v_mfma_f32_16x16x32_bf8_fp8 a[48+0:51+0], v[vgprValuB_X3_I0+2+0+0:vgprValuB_X3_I0+2+0+0+1], v[vgprValuA_X3_I0+8+0+0:vgprValuA_X3_I0+8+0+0+1], a[48:51]
/*  mfmaIndex:204  */
/* pack scheduling: packAIdx:48, packBIdx:12 */
v_perm_b32 v[vgprValuB_X3_I0+12], v[vgprValuB_X3_I0_D1+1], v[vgprValuB_X3_I0_D0+1], s[sgprPackKForV2] // select K=01 for vector=2
v_perm_b32 v[vgprPackTemp], v[vgprValuB_X3_I0_D3+1], v[vgprValuB_X3_I0_D2+1], s[sgprPackKForV2] // select K=23 for vector=2
_v_lshl_or_b32 v[vgprValuB_X3_I0+12], v[vgprPackTemp], 0x10, v[vgprValuB_X3_I0+12] // pack two half Vgpr to one Vgpr
v_perm_b32 v[vgprValuB_X3_I0+13], v[vgprValuB_X3_I0_D5+1], v[vgprValuB_X3_I0_D4+1], s[sgprPackKForV2] // select K=45 for vector=2
v_perm_b32 v[vgprPackTemp], v[vgprValuB_X3_I0_D7+1], v[vgprValuB_X3_I0_D6+1], s[sgprPackKForV2] // select K=67 for vector=2
_v_lshl_or_b32 v[vgprValuB_X3_I0+13], v[vgprPackTemp], 0x10, v[vgprValuB_X3_I0+13] // pack two half Vgpr to one Vgpr
v_mfma_f32_16x16x32_bf8_fp8 a[44+0:47+0], v[vgprValuB_X3_I0+2+0+0:vgprValuB_X3_I0+2+0+0+1], v[vgprValuA_X3_I0+6+0+0:vgprValuA_X3_I0+6+0+0+1], a[44:47]
/*  mfmaIndex:205  */
/* pack scheduling: packAIdx:48, packBIdx:12 */
v_perm_b32 v[vgprValuB_X3_I0+14], v[vgprValuB_X3_I0_D1+1], v[vgprValuB_X3_I0_D0+1], s[sgprPackKForV3] // select K=01 for vector=3
v_perm_b32 v[vgprPackTemp], v[vgprValuB_X3_I0_D3+1], v[vgprValuB_X3_I0_D2+1], s[sgprPackKForV3] // select K=23 for vector=3
_v_lshl_or_b32 v[vgprValuB_X3_I0+14], v[vgprPackTemp], 0x10, v[vgprValuB_X3_I0+14] // pack two half Vgpr to one Vgpr
v_perm_b32 v[vgprValuB_X3_I0+15], v[vgprValuB_X3_I0_D5+1], v[vgprValuB_X3_I0_D4+1], s[sgprPackKForV3] // select K=45 for vector=3
v_perm_b32 v[vgprPackTemp], v[vgprValuB_X3_I0_D7+1], v[vgprValuB_X3_I0_D6+1], s[sgprPackKForV3] // select K=67 for vector=3
_v_lshl_or_b32 v[vgprValuB_X3_I0+15], v[vgprPackTemp], 0x10, v[vgprValuB_X3_I0+15] // pack two half Vgpr to one Vgpr
v_mfma_f32_16x16x32_bf8_fp8 a[40+0:43+0], v[vgprValuB_X3_I0+2+0+0:vgprValuB_X3_I0+2+0+0+1], v[vgprValuA_X3_I0+4+0+0:vgprValuA_X3_I0+4+0+0+1], a[40:43]
/*  mfmaIndex:206  */
/* sched write - iter 3 writesPerItem=1 */
s_waitcnt vmcnt(0)                                 // lgkmcnt=-1 vmcnt=0wait for global read before writing to local
_ds_store_b128 v[vgprLocalWriteAddrB], v[vgprG2LB+20:vgprG2LB+20+3] offset:5120 // lwoB_0_0_5_0 = (0*LSCB) + (5*LSPB)(*MT1J+PAD) = 5120
v_mfma_f32_16x16x32_bf8_fp8 a[36+0:39+0], v[vgprValuB_X3_I0+2+0+0:vgprValuB_X3_I0+2+0+0+1], v[vgprValuA_X3_I0+2+0+0:vgprValuA_X3_I0+2+0+0+1], a[36:39]
/*  mfmaIndex:207  */
_buffer_load_b128 v[vgprG2LB+20:vgprG2LB+20+3], v[vgprGlobalReadOffsetB+0], s[sgprSrdB:sgprSrdB+3], s[sgprScalarGlobalReadOffsetB+4], offen offset:0 // G -> Reg 0_0_5_0
v_mfma_f32_16x16x32_bf8_fp8 a[32+0:35+0], v[vgprValuB_X3_I0+2+0+0:vgprValuB_X3_I0+2+0+0+1], v[vgprValuA_X3_I0+0+0+0:vgprValuA_X3_I0+0+0+0+1], a[32:35]
/*  mfmaIndex:208  */
v_mfma_f32_16x16x32_bf8_fp8 a[64+0:67+0], v[vgprValuB_X3_I0+4+0+0:vgprValuB_X3_I0+4+0+0+1], v[vgprValuA_X3_I0+0+0+0:vgprValuA_X3_I0+0+0+0+1], a[64:67]
/*  mfmaIndex:209  */
	;; [unrolled: 2-line block ×10, first 2 shown]
/* sched write - iter 3 writesPerItem=1 */
s_waitcnt vmcnt(0)                                 // lgkmcnt=-1 vmcnt=0wait for global read before writing to local
_ds_store_b128 v[vgprLocalWriteAddrB], v[vgprG2LB+24:vgprG2LB+24+3] offset:6144 // lwoB_0_0_6_0 = (0*LSCB) + (6*LSPB)(*MT1J+PAD) = 6144
v_mfma_f32_16x16x32_bf8_fp8 a[120+0:123+0], v[vgprValuB_X3_I0+6+0+0:vgprValuB_X3_I0+6+0+0+1], v[vgprValuA_X3_I0+12+0+0:vgprValuA_X3_I0+12+0+0+1], a[120:123]
/*  mfmaIndex:218  */
_buffer_load_b128 v[vgprG2LB+24:vgprG2LB+24+3], v[vgprGlobalReadOffsetB+0], s[sgprSrdB:sgprSrdB+3], s[sgprScalarGlobalReadOffsetB+5], offen offset:0 // G -> Reg 0_0_6_0
v_mfma_f32_16x16x32_bf8_fp8 a[116+0:119+0], v[vgprValuB_X3_I0+6+0+0:vgprValuB_X3_I0+6+0+0+1], v[vgprValuA_X3_I0+10+0+0:vgprValuA_X3_I0+10+0+0+1], a[116:119]
/*  mfmaIndex:219  */
v_mfma_f32_16x16x32_bf8_fp8 a[112+0:115+0], v[vgprValuB_X3_I0+6+0+0:vgprValuB_X3_I0+6+0+0+1], v[vgprValuA_X3_I0+8+0+0:vgprValuA_X3_I0+8+0+0+1], a[112:115]
/*  mfmaIndex:220  */
	;; [unrolled: 2-line block ×10, first 2 shown]
/* sched write - iter 3 writesPerItem=1 */
s_waitcnt vmcnt(0)                                 // lgkmcnt=-1 vmcnt=0wait for global read before writing to local
_ds_store_b128 v[vgprLocalWriteAddrB], v[vgprG2LB+28:vgprG2LB+28+3] offset:7168 // lwoB_0_0_7_0 = (0*LSCB) + (7*LSPB)(*MT1J+PAD) = 7168
v_mfma_f32_16x16x32_bf8_fp8 a[144+0:147+0], v[vgprValuB_X3_I0+8+0+0:vgprValuB_X3_I0+8+0+0+1], v[vgprValuA_X3_I0+8+0+0:vgprValuA_X3_I0+8+0+0+1], a[144:147]
/*  mfmaIndex:229  */
_buffer_load_b128 v[vgprG2LB+28:vgprG2LB+28+3], v[vgprGlobalReadOffsetB+0], s[sgprSrdB:sgprSrdB+3], s[sgprScalarGlobalReadOffsetB+6], offen offset:0 // G -> Reg 0_0_7_0

/* local write swap offsets a */

/* local write swap offsets b */
v_mfma_f32_16x16x32_bf8_fp8 a[148+0:151+0], v[vgprValuB_X3_I0+8+0+0:vgprValuB_X3_I0+8+0+0+1], v[vgprValuA_X3_I0+10+0+0:vgprValuA_X3_I0+10+0+0+1], a[148:151]
/*  mfmaIndex:230  */
v_mfma_f32_16x16x32_bf8_fp8 a[152+0:155+0], v[vgprValuB_X3_I0+8+0+0:vgprValuB_X3_I0+8+0+0+1], v[vgprValuA_X3_I0+12+0+0:vgprValuA_X3_I0+12+0+0+1], a[152:155]
/*  mfmaIndex:231  */
	;; [unrolled: 2-line block ×4, first 2 shown]
v_mfma_f32_16x16x32_bf8_fp8 a[184+0:187+0], v[vgprValuB_X3_I0+10+0+0:vgprValuB_X3_I0+10+0+0+1], v[vgprValuA_X3_I0+12+0+0:vgprValuA_X3_I0+12+0+0+1], a[184:187]
s_setprio 0                                        // store optimization
/*  mfmaIndex:234  */
s_waitcnt lgkmcnt(0)                               // lgkmcnt=0 vmcnt=-13wait for local write
// Skip force waitcnt0
s_barrier //
v_mfma_f32_16x16x32_bf8_fp8 a[180+0:183+0], v[vgprValuB_X3_I0+10+0+0:vgprValuB_X3_I0+10+0+0+1], v[vgprValuA_X3_I0+10+0+0:vgprValuA_X3_I0+10+0+0+1], a[180:183]
/*  mfmaIndex:235  */
s_setprio 3                                        // store optimization
_ds_load_b64 v[vgprValuA_X0_I0_D0+0:vgprValuA_X0_I0_D0+0+1], v[vgprLocalReadAddrA] offset:0 // L -> Reg lro=0 swapByteOffset=0 ti=256 vIdx=0 rIdx=0 oIdx=0 buffer=0 iui=0
v_mfma_f32_16x16x32_bf8_fp8 a[176+0:179+0], v[vgprValuB_X3_I0+10+0+0:vgprValuB_X3_I0+10+0+0+1], v[vgprValuA_X3_I0+8+0+0:vgprValuA_X3_I0+8+0+0+1], a[176:179]
/*  mfmaIndex:236  */
_ds_load_b64 v[vgprValuA_X0_I0_D1+0:vgprValuA_X0_I0_D1+0+1], v[vgprLocalReadAddrA] offset:256 // L -> Reg lro=0 swapByteOffset=0 ti=256 vIdx=0 rIdx=1 oIdx=0 buffer=0 iui=0
v_mfma_f32_16x16x32_bf8_fp8 a[172+0:175+0], v[vgprValuB_X3_I0+10+0+0:vgprValuB_X3_I0+10+0+0+1], v[vgprValuA_X3_I0+6+0+0:vgprValuA_X3_I0+6+0+0+1], a[172:175]
/*  mfmaIndex:237  */
_ds_load_b64 v[vgprValuA_X0_I0_D2+0:vgprValuA_X0_I0_D2+0+1], v[vgprLocalReadAddrA] offset:512 // L -> Reg lro=0 swapByteOffset=0 ti=256 vIdx=0 rIdx=2 oIdx=0 buffer=0 iui=0
v_mfma_f32_16x16x32_bf8_fp8 a[168+0:171+0], v[vgprValuB_X3_I0+10+0+0:vgprValuB_X3_I0+10+0+0+1], v[vgprValuA_X3_I0+4+0+0:vgprValuA_X3_I0+4+0+0+1], a[168:171]
/*  mfmaIndex:238  */
_ds_load_b64 v[vgprValuA_X0_I0_D3+0:vgprValuA_X0_I0_D3+0+1], v[vgprLocalReadAddrA] offset:768 // L -> Reg lro=0 swapByteOffset=0 ti=256 vIdx=0 rIdx=3 oIdx=0 buffer=0 iui=0
v_mfma_f32_16x16x32_bf8_fp8 a[164+0:167+0], v[vgprValuB_X3_I0+10+0+0:vgprValuB_X3_I0+10+0+0+1], v[vgprValuA_X3_I0+2+0+0:vgprValuA_X3_I0+2+0+0+1], a[164:167]
/*  mfmaIndex:239  */
_ds_load_b64 v[vgprValuA_X0_I0_D4+0:vgprValuA_X0_I0_D4+0+1], v[vgprLocalReadAddrA] offset:1024 // L -> Reg lro=0 swapByteOffset=0 ti=256 vIdx=0 rIdx=4 oIdx=0 buffer=0 iui=0
v_mfma_f32_16x16x32_bf8_fp8 a[160+0:163+0], v[vgprValuB_X3_I0+10+0+0:vgprValuB_X3_I0+10+0+0+1], v[vgprValuA_X3_I0+0+0+0:vgprValuA_X3_I0+0+0+0+1], a[160:163]
/*  mfmaIndex:240  */
_ds_load_b64 v[vgprValuA_X0_I0_D5+0:vgprValuA_X0_I0_D5+0+1], v[vgprLocalReadAddrA] offset:1280 // L -> Reg lro=0 swapByteOffset=0 ti=256 vIdx=0 rIdx=5 oIdx=0 buffer=0 iui=0
v_mfma_f32_16x16x32_bf8_fp8 a[192+0:195+0], v[vgprValuB_X3_I0+12+0+0:vgprValuB_X3_I0+12+0+0+1], v[vgprValuA_X3_I0+0+0+0:vgprValuA_X3_I0+0+0+0+1], a[192:195]
/*  mfmaIndex:241  */
_ds_load_b64 v[vgprValuA_X0_I0_D6+0:vgprValuA_X0_I0_D6+0+1], v[vgprLocalReadAddrA] offset:1536 // L -> Reg lro=0 swapByteOffset=0 ti=256 vIdx=0 rIdx=6 oIdx=0 buffer=0 iui=0
v_mfma_f32_16x16x32_bf8_fp8 a[196+0:199+0], v[vgprValuB_X3_I0+12+0+0:vgprValuB_X3_I0+12+0+0+1], v[vgprValuA_X3_I0+2+0+0:vgprValuA_X3_I0+2+0+0+1], a[196:199]
/*  mfmaIndex:242  */
_ds_load_b64 v[vgprValuA_X0_I0_D7+0:vgprValuA_X0_I0_D7+0+1], v[vgprLocalReadAddrA] offset:1792 // L -> Reg lro=0 swapByteOffset=0 ti=256 vIdx=0 rIdx=7 oIdx=0 buffer=0 iui=0
v_mfma_f32_16x16x32_bf8_fp8 a[200+0:203+0], v[vgprValuB_X3_I0+12+0+0:vgprValuB_X3_I0+12+0+0+1], v[vgprValuA_X3_I0+4+0+0:vgprValuA_X3_I0+4+0+0+1], a[200:203]
/*  mfmaIndex:243  */
_ds_load_b64 v[vgprValuB_X0_I0_D0+0:vgprValuB_X0_I0_D0+0+1], v[vgprLocalReadAddrB] offset:0 // L -> Reg lro=0 swapByteOffset=0 ti=256 vIdx=0 rIdx=0 oIdx=0 buffer=0 iui=0
v_mfma_f32_16x16x32_bf8_fp8 a[204+0:207+0], v[vgprValuB_X3_I0+12+0+0:vgprValuB_X3_I0+12+0+0+1], v[vgprValuA_X3_I0+6+0+0:vgprValuA_X3_I0+6+0+0+1], a[204:207]
/*  mfmaIndex:244  */
_ds_load_b64 v[vgprValuB_X0_I0_D1+0:vgprValuB_X0_I0_D1+0+1], v[vgprLocalReadAddrB] offset:256 // L -> Reg lro=0 swapByteOffset=0 ti=256 vIdx=0 rIdx=1 oIdx=0 buffer=0 iui=0
v_mfma_f32_16x16x32_bf8_fp8 a[208+0:211+0], v[vgprValuB_X3_I0+12+0+0:vgprValuB_X3_I0+12+0+0+1], v[vgprValuA_X3_I0+8+0+0:vgprValuA_X3_I0+8+0+0+1], a[208:211]
/*  mfmaIndex:245  */
_ds_load_b64 v[vgprValuB_X0_I0_D2+0:vgprValuB_X0_I0_D2+0+1], v[vgprLocalReadAddrB] offset:512 // L -> Reg lro=0 swapByteOffset=0 ti=256 vIdx=0 rIdx=2 oIdx=0 buffer=0 iui=0
v_mfma_f32_16x16x32_bf8_fp8 a[212+0:215+0], v[vgprValuB_X3_I0+12+0+0:vgprValuB_X3_I0+12+0+0+1], v[vgprValuA_X3_I0+10+0+0:vgprValuA_X3_I0+10+0+0+1], a[212:215]
/*  mfmaIndex:246  */
_ds_load_b64 v[vgprValuB_X0_I0_D3+0:vgprValuB_X0_I0_D3+0+1], v[vgprLocalReadAddrB] offset:768 // L -> Reg lro=0 swapByteOffset=0 ti=256 vIdx=0 rIdx=3 oIdx=0 buffer=0 iui=0
v_mfma_f32_16x16x32_bf8_fp8 a[216+0:219+0], v[vgprValuB_X3_I0+12+0+0:vgprValuB_X3_I0+12+0+0+1], v[vgprValuA_X3_I0+12+0+0:vgprValuA_X3_I0+12+0+0+1], a[216:219]
/*  mfmaIndex:247  */
_ds_load_b64 v[vgprValuB_X0_I0_D4+0:vgprValuB_X0_I0_D4+0+1], v[vgprLocalReadAddrB] offset:1024 // L -> Reg lro=0 swapByteOffset=0 ti=256 vIdx=0 rIdx=4 oIdx=0 buffer=0 iui=0
v_mfma_f32_16x16x32_bf8_fp8 a[220+0:223+0], v[vgprValuB_X3_I0+12+0+0:vgprValuB_X3_I0+12+0+0+1], v[vgprValuA_X3_I0+14+0+0:vgprValuA_X3_I0+14+0+0+1], a[220:223]
/*  mfmaIndex:248  */
_ds_load_b64 v[vgprValuB_X0_I0_D5+0:vgprValuB_X0_I0_D5+0+1], v[vgprLocalReadAddrB] offset:1280 // L -> Reg lro=0 swapByteOffset=0 ti=256 vIdx=0 rIdx=5 oIdx=0 buffer=0 iui=0
v_mfma_f32_16x16x32_bf8_fp8 a[252+0:255+0], v[vgprValuB_X3_I0+14+0+0:vgprValuB_X3_I0+14+0+0+1], v[vgprValuA_X3_I0+14+0+0:vgprValuA_X3_I0+14+0+0+1], a[252:255]
/*  mfmaIndex:249  */
_ds_load_b64 v[vgprValuB_X0_I0_D6+0:vgprValuB_X0_I0_D6+0+1], v[vgprLocalReadAddrB] offset:1536 // L -> Reg lro=0 swapByteOffset=0 ti=256 vIdx=0 rIdx=6 oIdx=0 buffer=0 iui=0
v_mfma_f32_16x16x32_bf8_fp8 a[248+0:251+0], v[vgprValuB_X3_I0+14+0+0:vgprValuB_X3_I0+14+0+0+1], v[vgprValuA_X3_I0+12+0+0:vgprValuA_X3_I0+12+0+0+1], a[248:251]
/*  mfmaIndex:250  */
_ds_load_b64 v[vgprValuB_X0_I0_D7+0:vgprValuB_X0_I0_D7+0+1], v[vgprLocalReadAddrB] offset:1792 // L -> Reg lro=0 swapByteOffset=0 ti=256 vIdx=0 rIdx=7 oIdx=0 buffer=0 iui=0
v_mfma_f32_16x16x32_bf8_fp8 a[244+0:247+0], v[vgprValuB_X3_I0+14+0+0:vgprValuB_X3_I0+14+0+0+1], v[vgprValuA_X3_I0+10+0+0:vgprValuA_X3_I0+10+0+0+1], a[244:247]
/*  mfmaIndex:251  */
v_mfma_f32_16x16x32_bf8_fp8 a[240+0:243+0], v[vgprValuB_X3_I0+14+0+0:vgprValuB_X3_I0+14+0+0+1], v[vgprValuA_X3_I0+8+0+0:vgprValuA_X3_I0+8+0+0+1], a[240:243]
/*  mfmaIndex:252  */
	;; [unrolled: 2-line block ×5, first 2 shown]
v_mfma_f32_16x16x32_bf8_fp8 a[224+0:227+0], v[vgprValuB_X3_I0+14+0+0:vgprValuB_X3_I0+14+0+0+1], v[vgprValuA_X3_I0+0+0+0:vgprValuA_X3_I0+0+0+0+1], a[224:227]
s_setprio 0                                        // store optimization


/******************************************/
/* Unrolled Loop - End 2/2 (final)        */
/******************************************/


/* closeLoop loopL finalLoop=1 tailLoop=0 */
s_sub_u32 s[sgprLoopCounterL], s[sgprLoopCounterL], 1 // dec counterL
s_cmp_eq_i32 s[sgprLoopCounterL], 0x2              // counterL==2
s_cbranch_scc0 LoopBeginL_1                        // restart LoopL
LoopEndL_evenexit_4: // unroll loop eveniter exit
s_branch LoopEndL_2                                // exit unroll loopL (and skip second exit code)
LoopEndL_oddexit_3: // unroll loop odditer exit

/* Select high bank of LDS */
LoopEndL_2:


/* Before NLL: Check VGPR.checkin for INT8 LW */


/******************************************/
/* Ord. NoGlobalLoadLoop - Begin                                      */
/******************************************/


	;; [unrolled: 1-line block ×3, first 2 shown]
/* iter 0 */

/*  grEndMfmaIndex:12, lwStartMfmaIndex:62, lwEndMfmaIndex:229  */
/*  numMfmaForLR:21, barrierMfmaIndex:234, LocalWritePerMfma:0.090 */
/*  mfmaIndex:0  */
s_waitcnt lgkmcnt(0)                               // lgkmcnt=0 vmcnt=-1wait for prior local read local write old=0, new=0 newLW=0 newLR=0
/* pack scheduling: packAIdx:6, packBIdx:6 */
v_perm_b32 v[vgprValuA_X0_I0+0], v[vgprValuA_X0_I0_D1+0], v[vgprValuA_X0_I0_D0+0], s[sgprPackKForV0] // select K=01 for vector=0
v_perm_b32 v[vgprPackTemp], v[vgprValuA_X0_I0_D3+0], v[vgprValuA_X0_I0_D2+0], s[sgprPackKForV0] // select K=23 for vector=0
_v_lshl_or_b32 v[vgprValuA_X0_I0+0], v[vgprPackTemp], 0x10, v[vgprValuA_X0_I0+0] // pack two half Vgpr to one Vgpr
v_perm_b32 v[vgprValuA_X0_I0+1], v[vgprValuA_X0_I0_D5+0], v[vgprValuA_X0_I0_D4+0], s[sgprPackKForV0] // select K=45 for vector=0
v_perm_b32 v[vgprPackTemp], v[vgprValuA_X0_I0_D7+0], v[vgprValuA_X0_I0_D6+0], s[sgprPackKForV0] // select K=67 for vector=0
_v_lshl_or_b32 v[vgprValuA_X0_I0+1], v[vgprPackTemp], 0x10, v[vgprValuA_X0_I0+1] // pack two half Vgpr to one Vgpr
v_perm_b32 v[vgprValuB_X0_I0+0], v[vgprValuB_X0_I0_D1+0], v[vgprValuB_X0_I0_D0+0], s[sgprPackKForV0] // select K=01 for vector=0
v_perm_b32 v[vgprPackTemp], v[vgprValuB_X0_I0_D3+0], v[vgprValuB_X0_I0_D2+0], s[sgprPackKForV0] // select K=23 for vector=0
_v_lshl_or_b32 v[vgprValuB_X0_I0+0], v[vgprPackTemp], 0x10, v[vgprValuB_X0_I0+0] // pack two half Vgpr to one Vgpr
v_perm_b32 v[vgprValuB_X0_I0+1], v[vgprValuB_X0_I0_D5+0], v[vgprValuB_X0_I0_D4+0], s[sgprPackKForV0] // select K=45 for vector=0
v_perm_b32 v[vgprPackTemp], v[vgprValuB_X0_I0_D7+0], v[vgprValuB_X0_I0_D6+0], s[sgprPackKForV0] // select K=67 for vector=0
_v_lshl_or_b32 v[vgprValuB_X0_I0+1], v[vgprPackTemp], 0x10, v[vgprValuB_X0_I0+1] // pack two half Vgpr to one Vgpr
v_perm_b32 v[vgprValuA_X0_I0+2], v[vgprValuA_X0_I0_D1+0], v[vgprValuA_X0_I0_D0+0], s[sgprPackKForV1] // select K=01 for vector=1
v_perm_b32 v[vgprPackTemp], v[vgprValuA_X0_I0_D3+0], v[vgprValuA_X0_I0_D2+0], s[sgprPackKForV1] // select K=23 for vector=1
_v_lshl_or_b32 v[vgprValuA_X0_I0+2], v[vgprPackTemp], 0x10, v[vgprValuA_X0_I0+2] // pack two half Vgpr to one Vgpr
v_perm_b32 v[vgprValuA_X0_I0+3], v[vgprValuA_X0_I0_D5+0], v[vgprValuA_X0_I0_D4+0], s[sgprPackKForV1] // select K=45 for vector=1
v_perm_b32 v[vgprPackTemp], v[vgprValuA_X0_I0_D7+0], v[vgprValuA_X0_I0_D6+0], s[sgprPackKForV1] // select K=67 for vector=1
_v_lshl_or_b32 v[vgprValuA_X0_I0+3], v[vgprPackTemp], 0x10, v[vgprValuA_X0_I0+3] // pack two half Vgpr to one Vgpr
v_mfma_f32_16x16x32_bf8_fp8 a[0+0:3+0], v[vgprValuB_X0_I0+0+0+0:vgprValuB_X0_I0+0+0+0+1], v[vgprValuA_X0_I0+0+0+0:vgprValuA_X0_I0+0+0+0+1], a[0:3]
/*  mfmaIndex:1  */
_ds_load_b64 v[vgprValuA_X1_I0_D0+0:vgprValuA_X1_I0_D0+0+1], v[vgprLocalReadAddrA] offset:8192 // L -> Reg lro=8192 swapByteOffset=0 ti=256 vIdx=0 rIdx=0 oIdx=0 buffer=1 iui=0

/* global read inc A loopL */
s_add_u32 s[sgprSrdA+0], s[sgprSrdA+0], s[sgprGlobalReadIncsA+0] // gra SRD += inc(lower)
/* pack scheduling: packAIdx:12, packBIdx:6 */
v_perm_b32 v[vgprValuA_X0_I0+4], v[vgprValuA_X0_I0_D1+0], v[vgprValuA_X0_I0_D0+0], s[sgprPackKForV2] // select K=01 for vector=2
v_perm_b32 v[vgprPackTemp], v[vgprValuA_X0_I0_D3+0], v[vgprValuA_X0_I0_D2+0], s[sgprPackKForV2] // select K=23 for vector=2
_v_lshl_or_b32 v[vgprValuA_X0_I0+4], v[vgprPackTemp], 0x10, v[vgprValuA_X0_I0+4] // pack two half Vgpr to one Vgpr
v_perm_b32 v[vgprValuA_X0_I0+5], v[vgprValuA_X0_I0_D5+0], v[vgprValuA_X0_I0_D4+0], s[sgprPackKForV2] // select K=45 for vector=2
v_perm_b32 v[vgprPackTemp], v[vgprValuA_X0_I0_D7+0], v[vgprValuA_X0_I0_D6+0], s[sgprPackKForV2] // select K=67 for vector=2
_v_lshl_or_b32 v[vgprValuA_X0_I0+5], v[vgprPackTemp], 0x10, v[vgprValuA_X0_I0+5] // pack two half Vgpr to one Vgpr
v_mfma_f32_16x16x32_bf8_fp8 a[4+0:7+0], v[vgprValuB_X0_I0+0+0+0:vgprValuB_X0_I0+0+0+0+1], v[vgprValuA_X0_I0+2+0+0:vgprValuA_X0_I0+2+0+0+1], a[4:7]
/*  mfmaIndex:2  */
_ds_load_b64 v[vgprValuA_X1_I0_D1+0:vgprValuA_X1_I0_D1+0+1], v[vgprLocalReadAddrA] offset:8448 // L -> Reg lro=8192 swapByteOffset=0 ti=256 vIdx=0 rIdx=1 oIdx=0 buffer=1 iui=0
s_addc_u32  s[sgprSrdA+1], s[sgprSrdA+1], 0        // gra SRD += inc(upper)
/* pack scheduling: packAIdx:18, packBIdx:6 */
v_perm_b32 v[vgprValuA_X0_I0+6], v[vgprValuA_X0_I0_D1+0], v[vgprValuA_X0_I0_D0+0], s[sgprPackKForV3] // select K=01 for vector=3
v_perm_b32 v[vgprPackTemp], v[vgprValuA_X0_I0_D3+0], v[vgprValuA_X0_I0_D2+0], s[sgprPackKForV3] // select K=23 for vector=3
_v_lshl_or_b32 v[vgprValuA_X0_I0+6], v[vgprPackTemp], 0x10, v[vgprValuA_X0_I0+6] // pack two half Vgpr to one Vgpr
v_perm_b32 v[vgprValuA_X0_I0+7], v[vgprValuA_X0_I0_D5+0], v[vgprValuA_X0_I0_D4+0], s[sgprPackKForV3] // select K=45 for vector=3
v_perm_b32 v[vgprPackTemp], v[vgprValuA_X0_I0_D7+0], v[vgprValuA_X0_I0_D6+0], s[sgprPackKForV3] // select K=67 for vector=3
_v_lshl_or_b32 v[vgprValuA_X0_I0+7], v[vgprPackTemp], 0x10, v[vgprValuA_X0_I0+7] // pack two half Vgpr to one Vgpr
v_mfma_f32_16x16x32_bf8_fp8 a[8+0:11+0], v[vgprValuB_X0_I0+0+0+0:vgprValuB_X0_I0+0+0+0+1], v[vgprValuA_X0_I0+4+0+0:vgprValuA_X0_I0+4+0+0+1], a[8:11]
/*  mfmaIndex:3  */
_ds_load_b64 v[vgprValuA_X1_I0_D2+0:vgprValuA_X1_I0_D2+0+1], v[vgprLocalReadAddrA] offset:8704 // L -> Reg lro=8192 swapByteOffset=0 ti=256 vIdx=0 rIdx=2 oIdx=0 buffer=1 iui=0
s_sub_u32 s[sgprShadowLimitA+0], s[sgprShadowLimitA+0], s[sgprGlobalReadIncsA+0] // limit -= inc)
/* pack scheduling: packAIdx:24, packBIdx:6 */
v_perm_b32 v[vgprValuA_X0_I0+8], v[vgprValuA_X0_I0_D1+1], v[vgprValuA_X0_I0_D0+1], s[sgprPackKForV0] // select K=01 for vector=0
v_perm_b32 v[vgprPackTemp], v[vgprValuA_X0_I0_D3+1], v[vgprValuA_X0_I0_D2+1], s[sgprPackKForV0] // select K=23 for vector=0
_v_lshl_or_b32 v[vgprValuA_X0_I0+8], v[vgprPackTemp], 0x10, v[vgprValuA_X0_I0+8] // pack two half Vgpr to one Vgpr
v_perm_b32 v[vgprValuA_X0_I0+9], v[vgprValuA_X0_I0_D5+1], v[vgprValuA_X0_I0_D4+1], s[sgprPackKForV0] // select K=45 for vector=0
v_perm_b32 v[vgprPackTemp], v[vgprValuA_X0_I0_D7+1], v[vgprValuA_X0_I0_D6+1], s[sgprPackKForV0] // select K=67 for vector=0
_v_lshl_or_b32 v[vgprValuA_X0_I0+9], v[vgprPackTemp], 0x10, v[vgprValuA_X0_I0+9] // pack two half Vgpr to one Vgpr
v_mfma_f32_16x16x32_bf8_fp8 a[12+0:15+0], v[vgprValuB_X0_I0+0+0+0:vgprValuB_X0_I0+0+0+0+1], v[vgprValuA_X0_I0+6+0+0:vgprValuA_X0_I0+6+0+0+1], a[12:15]
/*  mfmaIndex:4  */
_ds_load_b64 v[vgprValuA_X1_I0_D3+0:vgprValuA_X1_I0_D3+0+1], v[vgprLocalReadAddrA] offset:8960 // L -> Reg lro=8192 swapByteOffset=0 ti=256 vIdx=0 rIdx=3 oIdx=0 buffer=1 iui=0
s_subb_u32 s[sgprShadowLimitA+1], s[sgprShadowLimitA+1], 0 // limit -= inc)
/* pack scheduling: packAIdx:30, packBIdx:6 */
v_perm_b32 v[vgprValuA_X0_I0+10], v[vgprValuA_X0_I0_D1+1], v[vgprValuA_X0_I0_D0+1], s[sgprPackKForV1] // select K=01 for vector=1
v_perm_b32 v[vgprPackTemp], v[vgprValuA_X0_I0_D3+1], v[vgprValuA_X0_I0_D2+1], s[sgprPackKForV1] // select K=23 for vector=1
_v_lshl_or_b32 v[vgprValuA_X0_I0+10], v[vgprPackTemp], 0x10, v[vgprValuA_X0_I0+10] // pack two half Vgpr to one Vgpr
v_perm_b32 v[vgprValuA_X0_I0+11], v[vgprValuA_X0_I0_D5+1], v[vgprValuA_X0_I0_D4+1], s[sgprPackKForV1] // select K=45 for vector=1
v_perm_b32 v[vgprPackTemp], v[vgprValuA_X0_I0_D7+1], v[vgprValuA_X0_I0_D6+1], s[sgprPackKForV1] // select K=67 for vector=1
_v_lshl_or_b32 v[vgprValuA_X0_I0+11], v[vgprPackTemp], 0x10, v[vgprValuA_X0_I0+11] // pack two half Vgpr to one Vgpr
v_mfma_f32_16x16x32_bf8_fp8 a[16+0:19+0], v[vgprValuB_X0_I0+0+0+0:vgprValuB_X0_I0+0+0+0+1], v[vgprValuA_X0_I0+8+0+0:vgprValuA_X0_I0+8+0+0+1], a[16:19]
/*  mfmaIndex:5  */
_ds_load_b64 v[vgprValuA_X1_I0_D4+0:vgprValuA_X1_I0_D4+0+1], v[vgprLocalReadAddrA] offset:9216 // L -> Reg lro=8192 swapByteOffset=0 ti=256 vIdx=0 rIdx=4 oIdx=0 buffer=1 iui=0
s_cmp_eq_u32 s[sgprShadowLimitA+1], 0              // are we within 2^32?
/* pack scheduling: packAIdx:36, packBIdx:6 */
v_perm_b32 v[vgprValuA_X0_I0+12], v[vgprValuA_X0_I0_D1+1], v[vgprValuA_X0_I0_D0+1], s[sgprPackKForV2] // select K=01 for vector=2
v_perm_b32 v[vgprPackTemp], v[vgprValuA_X0_I0_D3+1], v[vgprValuA_X0_I0_D2+1], s[sgprPackKForV2] // select K=23 for vector=2
_v_lshl_or_b32 v[vgprValuA_X0_I0+12], v[vgprPackTemp], 0x10, v[vgprValuA_X0_I0+12] // pack two half Vgpr to one Vgpr
v_perm_b32 v[vgprValuA_X0_I0+13], v[vgprValuA_X0_I0_D5+1], v[vgprValuA_X0_I0_D4+1], s[sgprPackKForV2] // select K=45 for vector=2
v_perm_b32 v[vgprPackTemp], v[vgprValuA_X0_I0_D7+1], v[vgprValuA_X0_I0_D6+1], s[sgprPackKForV2] // select K=67 for vector=2
_v_lshl_or_b32 v[vgprValuA_X0_I0+13], v[vgprPackTemp], 0x10, v[vgprValuA_X0_I0+13] // pack two half Vgpr to one Vgpr
v_mfma_f32_16x16x32_bf8_fp8 a[20+0:23+0], v[vgprValuB_X0_I0+0+0+0:vgprValuB_X0_I0+0+0+0+1], v[vgprValuA_X0_I0+10+0+0:vgprValuA_X0_I0+10+0+0+1], a[20:23]
/*  mfmaIndex:6  */
_ds_load_b64 v[vgprValuA_X1_I0_D5+0:vgprValuA_X1_I0_D5+0+1], v[vgprLocalReadAddrA] offset:9472 // L -> Reg lro=8192 swapByteOffset=0 ti=256 vIdx=0 rIdx=5 oIdx=0 buffer=1 iui=0
s_cmov_b32 s[sgprSrdA+2], s[sgprShadowLimitA+0]    // Move shadow to real if we are within 2^32
/* pack scheduling: packAIdx:42, packBIdx:6 */
v_perm_b32 v[vgprValuA_X0_I0+14], v[vgprValuA_X0_I0_D1+1], v[vgprValuA_X0_I0_D0+1], s[sgprPackKForV3] // select K=01 for vector=3
v_perm_b32 v[vgprPackTemp], v[vgprValuA_X0_I0_D3+1], v[vgprValuA_X0_I0_D2+1], s[sgprPackKForV3] // select K=23 for vector=3
_v_lshl_or_b32 v[vgprValuA_X0_I0+14], v[vgprPackTemp], 0x10, v[vgprValuA_X0_I0+14] // pack two half Vgpr to one Vgpr
v_perm_b32 v[vgprValuA_X0_I0+15], v[vgprValuA_X0_I0_D5+1], v[vgprValuA_X0_I0_D4+1], s[sgprPackKForV3] // select K=45 for vector=3
v_perm_b32 v[vgprPackTemp], v[vgprValuA_X0_I0_D7+1], v[vgprValuA_X0_I0_D6+1], s[sgprPackKForV3] // select K=67 for vector=3
_v_lshl_or_b32 v[vgprValuA_X0_I0+15], v[vgprPackTemp], 0x10, v[vgprValuA_X0_I0+15] // pack two half Vgpr to one Vgpr
v_mfma_f32_16x16x32_bf8_fp8 a[24+0:27+0], v[vgprValuB_X0_I0+0+0+0:vgprValuB_X0_I0+0+0+0+1], v[vgprValuA_X0_I0+12+0+0:vgprValuA_X0_I0+12+0+0+1], a[24:27]
/*  mfmaIndex:7  */
_ds_load_b64 v[vgprValuA_X1_I0_D6+0:vgprValuA_X1_I0_D6+0+1], v[vgprLocalReadAddrA] offset:9728 // L -> Reg lro=8192 swapByteOffset=0 ti=256 vIdx=0 rIdx=6 oIdx=0 buffer=1 iui=0

/* global read inc B loopL */
s_add_u32 s[sgprSrdB+0], s[sgprSrdB+0], s[sgprGlobalReadIncsB+0] // gra SRD += inc(lower)
/* pack scheduling: packAIdx:48, packBIdx:6 */
v_perm_b32 v[vgprValuB_X0_I0+2], v[vgprValuB_X0_I0_D1+0], v[vgprValuB_X0_I0_D0+0], s[sgprPackKForV1] // select K=01 for vector=1
v_perm_b32 v[vgprPackTemp], v[vgprValuB_X0_I0_D3+0], v[vgprValuB_X0_I0_D2+0], s[sgprPackKForV1] // select K=23 for vector=1
_v_lshl_or_b32 v[vgprValuB_X0_I0+2], v[vgprPackTemp], 0x10, v[vgprValuB_X0_I0+2] // pack two half Vgpr to one Vgpr
v_perm_b32 v[vgprValuB_X0_I0+3], v[vgprValuB_X0_I0_D5+0], v[vgprValuB_X0_I0_D4+0], s[sgprPackKForV1] // select K=45 for vector=1
v_perm_b32 v[vgprPackTemp], v[vgprValuB_X0_I0_D7+0], v[vgprValuB_X0_I0_D6+0], s[sgprPackKForV1] // select K=67 for vector=1
_v_lshl_or_b32 v[vgprValuB_X0_I0+3], v[vgprPackTemp], 0x10, v[vgprValuB_X0_I0+3] // pack two half Vgpr to one Vgpr
v_mfma_f32_16x16x32_bf8_fp8 a[28+0:31+0], v[vgprValuB_X0_I0+0+0+0:vgprValuB_X0_I0+0+0+0+1], v[vgprValuA_X0_I0+14+0+0:vgprValuA_X0_I0+14+0+0+1], a[28:31]
/*  mfmaIndex:8  */
_ds_load_b64 v[vgprValuA_X1_I0_D7+0:vgprValuA_X1_I0_D7+0+1], v[vgprLocalReadAddrA] offset:9984 // L -> Reg lro=8192 swapByteOffset=0 ti=256 vIdx=0 rIdx=7 oIdx=0 buffer=1 iui=0
s_addc_u32  s[sgprSrdB+1], s[sgprSrdB+1], 0        // gra SRD += inc(upper)
/* pack scheduling: packAIdx:48, packBIdx:12 */
v_perm_b32 v[vgprValuB_X0_I0+4], v[vgprValuB_X0_I0_D1+0], v[vgprValuB_X0_I0_D0+0], s[sgprPackKForV2] // select K=01 for vector=2
v_perm_b32 v[vgprPackTemp], v[vgprValuB_X0_I0_D3+0], v[vgprValuB_X0_I0_D2+0], s[sgprPackKForV2] // select K=23 for vector=2
_v_lshl_or_b32 v[vgprValuB_X0_I0+4], v[vgprPackTemp], 0x10, v[vgprValuB_X0_I0+4] // pack two half Vgpr to one Vgpr
v_perm_b32 v[vgprValuB_X0_I0+5], v[vgprValuB_X0_I0_D5+0], v[vgprValuB_X0_I0_D4+0], s[sgprPackKForV2] // select K=45 for vector=2
v_perm_b32 v[vgprPackTemp], v[vgprValuB_X0_I0_D7+0], v[vgprValuB_X0_I0_D6+0], s[sgprPackKForV2] // select K=67 for vector=2
_v_lshl_or_b32 v[vgprValuB_X0_I0+5], v[vgprPackTemp], 0x10, v[vgprValuB_X0_I0+5] // pack two half Vgpr to one Vgpr
v_mfma_f32_16x16x32_bf8_fp8 a[60+0:63+0], v[vgprValuB_X0_I0+2+0+0:vgprValuB_X0_I0+2+0+0+1], v[vgprValuA_X0_I0+14+0+0:vgprValuA_X0_I0+14+0+0+1], a[60:63]
/*  mfmaIndex:9  */
_ds_load_b64 v[vgprValuB_X1_I0_D0+0:vgprValuB_X1_I0_D0+0+1], v[vgprLocalReadAddrB] offset:8192 // L -> Reg lro=8192 swapByteOffset=0 ti=256 vIdx=0 rIdx=0 oIdx=0 buffer=1 iui=0
s_sub_u32 s[sgprShadowLimitB+0], s[sgprShadowLimitB+0], s[sgprGlobalReadIncsB+0] // limit -= inc)
/* pack scheduling: packAIdx:48, packBIdx:12 */
v_perm_b32 v[vgprValuB_X0_I0+6], v[vgprValuB_X0_I0_D1+0], v[vgprValuB_X0_I0_D0+0], s[sgprPackKForV3] // select K=01 for vector=3
v_perm_b32 v[vgprPackTemp], v[vgprValuB_X0_I0_D3+0], v[vgprValuB_X0_I0_D2+0], s[sgprPackKForV3] // select K=23 for vector=3
_v_lshl_or_b32 v[vgprValuB_X0_I0+6], v[vgprPackTemp], 0x10, v[vgprValuB_X0_I0+6] // pack two half Vgpr to one Vgpr
v_perm_b32 v[vgprValuB_X0_I0+7], v[vgprValuB_X0_I0_D5+0], v[vgprValuB_X0_I0_D4+0], s[sgprPackKForV3] // select K=45 for vector=3
v_perm_b32 v[vgprPackTemp], v[vgprValuB_X0_I0_D7+0], v[vgprValuB_X0_I0_D6+0], s[sgprPackKForV3] // select K=67 for vector=3
_v_lshl_or_b32 v[vgprValuB_X0_I0+7], v[vgprPackTemp], 0x10, v[vgprValuB_X0_I0+7] // pack two half Vgpr to one Vgpr
v_mfma_f32_16x16x32_bf8_fp8 a[56+0:59+0], v[vgprValuB_X0_I0+2+0+0:vgprValuB_X0_I0+2+0+0+1], v[vgprValuA_X0_I0+12+0+0:vgprValuA_X0_I0+12+0+0+1], a[56:59]
/*  mfmaIndex:10  */
_ds_load_b64 v[vgprValuB_X1_I0_D1+0:vgprValuB_X1_I0_D1+0+1], v[vgprLocalReadAddrB] offset:8448 // L -> Reg lro=8192 swapByteOffset=0 ti=256 vIdx=0 rIdx=1 oIdx=0 buffer=1 iui=0
s_subb_u32 s[sgprShadowLimitB+1], s[sgprShadowLimitB+1], 0 // limit -= inc)
/* pack scheduling: packAIdx:48, packBIdx:12 */
v_perm_b32 v[vgprValuB_X0_I0+8], v[vgprValuB_X0_I0_D1+1], v[vgprValuB_X0_I0_D0+1], s[sgprPackKForV0] // select K=01 for vector=0
v_perm_b32 v[vgprPackTemp], v[vgprValuB_X0_I0_D3+1], v[vgprValuB_X0_I0_D2+1], s[sgprPackKForV0] // select K=23 for vector=0
_v_lshl_or_b32 v[vgprValuB_X0_I0+8], v[vgprPackTemp], 0x10, v[vgprValuB_X0_I0+8] // pack two half Vgpr to one Vgpr
v_perm_b32 v[vgprValuB_X0_I0+9], v[vgprValuB_X0_I0_D5+1], v[vgprValuB_X0_I0_D4+1], s[sgprPackKForV0] // select K=45 for vector=0
v_perm_b32 v[vgprPackTemp], v[vgprValuB_X0_I0_D7+1], v[vgprValuB_X0_I0_D6+1], s[sgprPackKForV0] // select K=67 for vector=0
_v_lshl_or_b32 v[vgprValuB_X0_I0+9], v[vgprPackTemp], 0x10, v[vgprValuB_X0_I0+9] // pack two half Vgpr to one Vgpr
v_mfma_f32_16x16x32_bf8_fp8 a[52+0:55+0], v[vgprValuB_X0_I0+2+0+0:vgprValuB_X0_I0+2+0+0+1], v[vgprValuA_X0_I0+10+0+0:vgprValuA_X0_I0+10+0+0+1], a[52:55]
/*  mfmaIndex:11  */
_ds_load_b64 v[vgprValuB_X1_I0_D2+0:vgprValuB_X1_I0_D2+0+1], v[vgprLocalReadAddrB] offset:8704 // L -> Reg lro=8192 swapByteOffset=0 ti=256 vIdx=0 rIdx=2 oIdx=0 buffer=1 iui=0
s_cmp_eq_u32 s[sgprShadowLimitB+1], 0              // are we within 2^32?
/* pack scheduling: packAIdx:48, packBIdx:12 */
v_perm_b32 v[vgprValuB_X0_I0+10], v[vgprValuB_X0_I0_D1+1], v[vgprValuB_X0_I0_D0+1], s[sgprPackKForV1] // select K=01 for vector=1
v_perm_b32 v[vgprPackTemp], v[vgprValuB_X0_I0_D3+1], v[vgprValuB_X0_I0_D2+1], s[sgprPackKForV1] // select K=23 for vector=1
_v_lshl_or_b32 v[vgprValuB_X0_I0+10], v[vgprPackTemp], 0x10, v[vgprValuB_X0_I0+10] // pack two half Vgpr to one Vgpr
v_perm_b32 v[vgprValuB_X0_I0+11], v[vgprValuB_X0_I0_D5+1], v[vgprValuB_X0_I0_D4+1], s[sgprPackKForV1] // select K=45 for vector=1
v_perm_b32 v[vgprPackTemp], v[vgprValuB_X0_I0_D7+1], v[vgprValuB_X0_I0_D6+1], s[sgprPackKForV1] // select K=67 for vector=1
_v_lshl_or_b32 v[vgprValuB_X0_I0+11], v[vgprPackTemp], 0x10, v[vgprValuB_X0_I0+11] // pack two half Vgpr to one Vgpr
v_mfma_f32_16x16x32_bf8_fp8 a[48+0:51+0], v[vgprValuB_X0_I0+2+0+0:vgprValuB_X0_I0+2+0+0+1], v[vgprValuA_X0_I0+8+0+0:vgprValuA_X0_I0+8+0+0+1], a[48:51]
/*  mfmaIndex:12  */
_ds_load_b64 v[vgprValuB_X1_I0_D3+0:vgprValuB_X1_I0_D3+0+1], v[vgprLocalReadAddrB] offset:8960 // L -> Reg lro=8192 swapByteOffset=0 ti=256 vIdx=0 rIdx=3 oIdx=0 buffer=1 iui=0
s_cmov_b32 s[sgprSrdB+2], s[sgprShadowLimitB+0]    // Move shadow to real if we are within 2^32
/* pack scheduling: packAIdx:48, packBIdx:12 */
v_perm_b32 v[vgprValuB_X0_I0+12], v[vgprValuB_X0_I0_D1+1], v[vgprValuB_X0_I0_D0+1], s[sgprPackKForV2] // select K=01 for vector=2
v_perm_b32 v[vgprPackTemp], v[vgprValuB_X0_I0_D3+1], v[vgprValuB_X0_I0_D2+1], s[sgprPackKForV2] // select K=23 for vector=2
_v_lshl_or_b32 v[vgprValuB_X0_I0+12], v[vgprPackTemp], 0x10, v[vgprValuB_X0_I0+12] // pack two half Vgpr to one Vgpr
v_perm_b32 v[vgprValuB_X0_I0+13], v[vgprValuB_X0_I0_D5+1], v[vgprValuB_X0_I0_D4+1], s[sgprPackKForV2] // select K=45 for vector=2
v_perm_b32 v[vgprPackTemp], v[vgprValuB_X0_I0_D7+1], v[vgprValuB_X0_I0_D6+1], s[sgprPackKForV2] // select K=67 for vector=2
_v_lshl_or_b32 v[vgprValuB_X0_I0+13], v[vgprPackTemp], 0x10, v[vgprValuB_X0_I0+13] // pack two half Vgpr to one Vgpr
v_mfma_f32_16x16x32_bf8_fp8 a[44+0:47+0], v[vgprValuB_X0_I0+2+0+0:vgprValuB_X0_I0+2+0+0+1], v[vgprValuA_X0_I0+6+0+0:vgprValuA_X0_I0+6+0+0+1], a[44:47]
/*  mfmaIndex:13  */
_ds_load_b64 v[vgprValuB_X1_I0_D4+0:vgprValuB_X1_I0_D4+0+1], v[vgprLocalReadAddrB] offset:9216 // L -> Reg lro=8192 swapByteOffset=0 ti=256 vIdx=0 rIdx=4 oIdx=0 buffer=1 iui=0
/* pack scheduling: packAIdx:48, packBIdx:12 */
v_perm_b32 v[vgprValuB_X0_I0+14], v[vgprValuB_X0_I0_D1+1], v[vgprValuB_X0_I0_D0+1], s[sgprPackKForV3] // select K=01 for vector=3
v_perm_b32 v[vgprPackTemp], v[vgprValuB_X0_I0_D3+1], v[vgprValuB_X0_I0_D2+1], s[sgprPackKForV3] // select K=23 for vector=3
_v_lshl_or_b32 v[vgprValuB_X0_I0+14], v[vgprPackTemp], 0x10, v[vgprValuB_X0_I0+14] // pack two half Vgpr to one Vgpr
v_perm_b32 v[vgprValuB_X0_I0+15], v[vgprValuB_X0_I0_D5+1], v[vgprValuB_X0_I0_D4+1], s[sgprPackKForV3] // select K=45 for vector=3
v_perm_b32 v[vgprPackTemp], v[vgprValuB_X0_I0_D7+1], v[vgprValuB_X0_I0_D6+1], s[sgprPackKForV3] // select K=67 for vector=3
_v_lshl_or_b32 v[vgprValuB_X0_I0+15], v[vgprPackTemp], 0x10, v[vgprValuB_X0_I0+15] // pack two half Vgpr to one Vgpr
v_mfma_f32_16x16x32_bf8_fp8 a[40+0:43+0], v[vgprValuB_X0_I0+2+0+0:vgprValuB_X0_I0+2+0+0+1], v[vgprValuA_X0_I0+4+0+0:vgprValuA_X0_I0+4+0+0+1], a[40:43]
/*  mfmaIndex:14  */
_ds_load_b64 v[vgprValuB_X1_I0_D5+0:vgprValuB_X1_I0_D5+0+1], v[vgprLocalReadAddrB] offset:9472 // L -> Reg lro=8192 swapByteOffset=0 ti=256 vIdx=0 rIdx=5 oIdx=0 buffer=1 iui=0
v_mfma_f32_16x16x32_bf8_fp8 a[36+0:39+0], v[vgprValuB_X0_I0+2+0+0:vgprValuB_X0_I0+2+0+0+1], v[vgprValuA_X0_I0+2+0+0:vgprValuA_X0_I0+2+0+0+1], a[36:39]
/*  mfmaIndex:15  */
_ds_load_b64 v[vgprValuB_X1_I0_D6+0:vgprValuB_X1_I0_D6+0+1], v[vgprLocalReadAddrB] offset:9728 // L -> Reg lro=8192 swapByteOffset=0 ti=256 vIdx=0 rIdx=6 oIdx=0 buffer=1 iui=0
v_mfma_f32_16x16x32_bf8_fp8 a[32+0:35+0], v[vgprValuB_X0_I0+2+0+0:vgprValuB_X0_I0+2+0+0+1], v[vgprValuA_X0_I0+0+0+0:vgprValuA_X0_I0+0+0+0+1], a[32:35]
/*  mfmaIndex:16  */
_ds_load_b64 v[vgprValuB_X1_I0_D7+0:vgprValuB_X1_I0_D7+0+1], v[vgprLocalReadAddrB] offset:9984 // L -> Reg lro=8192 swapByteOffset=0 ti=256 vIdx=0 rIdx=7 oIdx=0 buffer=1 iui=0
v_mfma_f32_16x16x32_bf8_fp8 a[64+0:67+0], v[vgprValuB_X0_I0+4+0+0:vgprValuB_X0_I0+4+0+0+1], v[vgprValuA_X0_I0+0+0+0:vgprValuA_X0_I0+0+0+0+1], a[64:67]
/*  mfmaIndex:17  */
/* localReadsVacancy: latencyLeft 2 */
_ds_load_b64 v[vgprValuA_X2_I0_D0+0:vgprValuA_X2_I0_D0+0+1], v[vgprLocalReadAddrA] offset:16384 // L -> Reg lro=16384 swapByteOffset=0 ti=256 vIdx=0 rIdx=0 oIdx=0 buffer=2 iui=0
v_mfma_f32_16x16x32_bf8_fp8 a[68+0:71+0], v[vgprValuB_X0_I0+4+0+0:vgprValuB_X0_I0+4+0+0+1], v[vgprValuA_X0_I0+2+0+0:vgprValuA_X0_I0+2+0+0+1], a[68:71]
/*  mfmaIndex:18  */
/* localReadsVacancy: latencyLeft 2 */
_ds_load_b64 v[vgprValuA_X2_I0_D1+0:vgprValuA_X2_I0_D1+0+1], v[vgprLocalReadAddrA] offset:16640 // L -> Reg lro=16384 swapByteOffset=0 ti=256 vIdx=0 rIdx=1 oIdx=0 buffer=2 iui=0
v_mfma_f32_16x16x32_bf8_fp8 a[72+0:75+0], v[vgprValuB_X0_I0+4+0+0:vgprValuB_X0_I0+4+0+0+1], v[vgprValuA_X0_I0+4+0+0:vgprValuA_X0_I0+4+0+0+1], a[72:75]
/*  mfmaIndex:19  */
/* localReadsVacancy: latencyLeft 2 */
_ds_load_b64 v[vgprValuA_X2_I0_D2+0:vgprValuA_X2_I0_D2+0+1], v[vgprLocalReadAddrA] offset:16896 // L -> Reg lro=16384 swapByteOffset=0 ti=256 vIdx=0 rIdx=2 oIdx=0 buffer=2 iui=0
v_mfma_f32_16x16x32_bf8_fp8 a[76+0:79+0], v[vgprValuB_X0_I0+4+0+0:vgprValuB_X0_I0+4+0+0+1], v[vgprValuA_X0_I0+6+0+0:vgprValuA_X0_I0+6+0+0+1], a[76:79]
/*  mfmaIndex:20  */
/* localReadsVacancy: latencyLeft 2 */
_ds_load_b64 v[vgprValuA_X2_I0_D3+0:vgprValuA_X2_I0_D3+0+1], v[vgprLocalReadAddrA] offset:17152 // L -> Reg lro=16384 swapByteOffset=0 ti=256 vIdx=0 rIdx=3 oIdx=0 buffer=2 iui=0
v_mfma_f32_16x16x32_bf8_fp8 a[80+0:83+0], v[vgprValuB_X0_I0+4+0+0:vgprValuB_X0_I0+4+0+0+1], v[vgprValuA_X0_I0+8+0+0:vgprValuA_X0_I0+8+0+0+1], a[80:83]
/*  mfmaIndex:21  */
/* localReadsVacancy: latencyLeft 2 */
_ds_load_b64 v[vgprValuA_X2_I0_D4+0:vgprValuA_X2_I0_D4+0+1], v[vgprLocalReadAddrA] offset:17408 // L -> Reg lro=16384 swapByteOffset=0 ti=256 vIdx=0 rIdx=4 oIdx=0 buffer=2 iui=0
v_mfma_f32_16x16x32_bf8_fp8 a[84+0:87+0], v[vgprValuB_X0_I0+4+0+0:vgprValuB_X0_I0+4+0+0+1], v[vgprValuA_X0_I0+10+0+0:vgprValuA_X0_I0+10+0+0+1], a[84:87]
/*  mfmaIndex:22  */
/* localReadsVacancy: latencyLeft 2 */
_ds_load_b64 v[vgprValuA_X2_I0_D5+0:vgprValuA_X2_I0_D5+0+1], v[vgprLocalReadAddrA] offset:17664 // L -> Reg lro=16384 swapByteOffset=0 ti=256 vIdx=0 rIdx=5 oIdx=0 buffer=2 iui=0
v_mfma_f32_16x16x32_bf8_fp8 a[88+0:91+0], v[vgprValuB_X0_I0+4+0+0:vgprValuB_X0_I0+4+0+0+1], v[vgprValuA_X0_I0+12+0+0:vgprValuA_X0_I0+12+0+0+1], a[88:91]
/*  mfmaIndex:23  */
/* localReadsVacancy: latencyLeft 2 */
_ds_load_b64 v[vgprValuA_X2_I0_D6+0:vgprValuA_X2_I0_D6+0+1], v[vgprLocalReadAddrA] offset:17920 // L -> Reg lro=16384 swapByteOffset=0 ti=256 vIdx=0 rIdx=6 oIdx=0 buffer=2 iui=0
v_mfma_f32_16x16x32_bf8_fp8 a[92+0:95+0], v[vgprValuB_X0_I0+4+0+0:vgprValuB_X0_I0+4+0+0+1], v[vgprValuA_X0_I0+14+0+0:vgprValuA_X0_I0+14+0+0+1], a[92:95]
/*  mfmaIndex:24  */
/* localReadsVacancy: latencyLeft 2 */
_ds_load_b64 v[vgprValuA_X2_I0_D7+0:vgprValuA_X2_I0_D7+0+1], v[vgprLocalReadAddrA] offset:18176 // L -> Reg lro=16384 swapByteOffset=0 ti=256 vIdx=0 rIdx=7 oIdx=0 buffer=2 iui=0
v_mfma_f32_16x16x32_bf8_fp8 a[124+0:127+0], v[vgprValuB_X0_I0+6+0+0:vgprValuB_X0_I0+6+0+0+1], v[vgprValuA_X0_I0+14+0+0:vgprValuA_X0_I0+14+0+0+1], a[124:127]
/*  mfmaIndex:25  */
/* localReadsVacancy: latencyLeft 2 */
_ds_load_b64 v[vgprValuB_X2_I0_D0+0:vgprValuB_X2_I0_D0+0+1], v[vgprLocalReadAddrB] offset:16384 // L -> Reg lro=16384 swapByteOffset=0 ti=256 vIdx=0 rIdx=0 oIdx=0 buffer=2 iui=0
v_mfma_f32_16x16x32_bf8_fp8 a[120+0:123+0], v[vgprValuB_X0_I0+6+0+0:vgprValuB_X0_I0+6+0+0+1], v[vgprValuA_X0_I0+12+0+0:vgprValuA_X0_I0+12+0+0+1], a[120:123]
/*  mfmaIndex:26  */
/* localReadsVacancy: latencyLeft 2 */
_ds_load_b64 v[vgprValuB_X2_I0_D1+0:vgprValuB_X2_I0_D1+0+1], v[vgprLocalReadAddrB] offset:16640 // L -> Reg lro=16384 swapByteOffset=0 ti=256 vIdx=0 rIdx=1 oIdx=0 buffer=2 iui=0
v_mfma_f32_16x16x32_bf8_fp8 a[116+0:119+0], v[vgprValuB_X0_I0+6+0+0:vgprValuB_X0_I0+6+0+0+1], v[vgprValuA_X0_I0+10+0+0:vgprValuA_X0_I0+10+0+0+1], a[116:119]
/*  mfmaIndex:27  */
/* localReadsVacancy: latencyLeft 2 */
_ds_load_b64 v[vgprValuB_X2_I0_D2+0:vgprValuB_X2_I0_D2+0+1], v[vgprLocalReadAddrB] offset:16896 // L -> Reg lro=16384 swapByteOffset=0 ti=256 vIdx=0 rIdx=2 oIdx=0 buffer=2 iui=0
v_mfma_f32_16x16x32_bf8_fp8 a[112+0:115+0], v[vgprValuB_X0_I0+6+0+0:vgprValuB_X0_I0+6+0+0+1], v[vgprValuA_X0_I0+8+0+0:vgprValuA_X0_I0+8+0+0+1], a[112:115]
/*  mfmaIndex:28  */
/* localReadsVacancy: latencyLeft 2 */
_ds_load_b64 v[vgprValuB_X2_I0_D3+0:vgprValuB_X2_I0_D3+0+1], v[vgprLocalReadAddrB] offset:17152 // L -> Reg lro=16384 swapByteOffset=0 ti=256 vIdx=0 rIdx=3 oIdx=0 buffer=2 iui=0
v_mfma_f32_16x16x32_bf8_fp8 a[108+0:111+0], v[vgprValuB_X0_I0+6+0+0:vgprValuB_X0_I0+6+0+0+1], v[vgprValuA_X0_I0+6+0+0:vgprValuA_X0_I0+6+0+0+1], a[108:111]
/*  mfmaIndex:29  */
/* localReadsVacancy: latencyLeft 2 */
_ds_load_b64 v[vgprValuB_X2_I0_D4+0:vgprValuB_X2_I0_D4+0+1], v[vgprLocalReadAddrB] offset:17408 // L -> Reg lro=16384 swapByteOffset=0 ti=256 vIdx=0 rIdx=4 oIdx=0 buffer=2 iui=0
v_mfma_f32_16x16x32_bf8_fp8 a[104+0:107+0], v[vgprValuB_X0_I0+6+0+0:vgprValuB_X0_I0+6+0+0+1], v[vgprValuA_X0_I0+4+0+0:vgprValuA_X0_I0+4+0+0+1], a[104:107]
/*  mfmaIndex:30  */
/* localReadsVacancy: latencyLeft 2 */
_ds_load_b64 v[vgprValuB_X2_I0_D5+0:vgprValuB_X2_I0_D5+0+1], v[vgprLocalReadAddrB] offset:17664 // L -> Reg lro=16384 swapByteOffset=0 ti=256 vIdx=0 rIdx=5 oIdx=0 buffer=2 iui=0
v_mfma_f32_16x16x32_bf8_fp8 a[100+0:103+0], v[vgprValuB_X0_I0+6+0+0:vgprValuB_X0_I0+6+0+0+1], v[vgprValuA_X0_I0+2+0+0:vgprValuA_X0_I0+2+0+0+1], a[100:103]
/*  mfmaIndex:31  */
/* localReadsVacancy: latencyLeft 2 */
_ds_load_b64 v[vgprValuB_X2_I0_D6+0:vgprValuB_X2_I0_D6+0+1], v[vgprLocalReadAddrB] offset:17920 // L -> Reg lro=16384 swapByteOffset=0 ti=256 vIdx=0 rIdx=6 oIdx=0 buffer=2 iui=0
v_mfma_f32_16x16x32_bf8_fp8 a[96+0:99+0], v[vgprValuB_X0_I0+6+0+0:vgprValuB_X0_I0+6+0+0+1], v[vgprValuA_X0_I0+0+0+0:vgprValuA_X0_I0+0+0+0+1], a[96:99]
/*  mfmaIndex:32  */
/* localReadsVacancy: latencyLeft 2 */
_ds_load_b64 v[vgprValuB_X2_I0_D7+0:vgprValuB_X2_I0_D7+0+1], v[vgprLocalReadAddrB] offset:18176 // L -> Reg lro=16384 swapByteOffset=0 ti=256 vIdx=0 rIdx=7 oIdx=0 buffer=2 iui=0
v_mfma_f32_16x16x32_bf8_fp8 a[128+0:131+0], v[vgprValuB_X0_I0+8+0+0:vgprValuB_X0_I0+8+0+0+1], v[vgprValuA_X0_I0+0+0+0:vgprValuA_X0_I0+0+0+0+1], a[128:131]
/*  mfmaIndex:33  */
/* localReadsVacancy: latencyLeft 2 */
_ds_load_b64 v[vgprValuA_X3_I0_D0+0:vgprValuA_X3_I0_D0+0+1], v[vgprLocalReadAddrA] offset:24576 // L -> Reg lro=24576 swapByteOffset=0 ti=256 vIdx=0 rIdx=0 oIdx=0 buffer=3 iui=0
v_mfma_f32_16x16x32_bf8_fp8 a[132+0:135+0], v[vgprValuB_X0_I0+8+0+0:vgprValuB_X0_I0+8+0+0+1], v[vgprValuA_X0_I0+2+0+0:vgprValuA_X0_I0+2+0+0+1], a[132:135]
/*  mfmaIndex:34  */
/* localReadsVacancy: latencyLeft 2 */
_ds_load_b64 v[vgprValuA_X3_I0_D1+0:vgprValuA_X3_I0_D1+0+1], v[vgprLocalReadAddrA] offset:24832 // L -> Reg lro=24576 swapByteOffset=0 ti=256 vIdx=0 rIdx=1 oIdx=0 buffer=3 iui=0
v_mfma_f32_16x16x32_bf8_fp8 a[136+0:139+0], v[vgprValuB_X0_I0+8+0+0:vgprValuB_X0_I0+8+0+0+1], v[vgprValuA_X0_I0+4+0+0:vgprValuA_X0_I0+4+0+0+1], a[136:139]
/*  mfmaIndex:35  */
/* localReadsVacancy: latencyLeft 2 */
_ds_load_b64 v[vgprValuA_X3_I0_D2+0:vgprValuA_X3_I0_D2+0+1], v[vgprLocalReadAddrA] offset:25088 // L -> Reg lro=24576 swapByteOffset=0 ti=256 vIdx=0 rIdx=2 oIdx=0 buffer=3 iui=0
v_mfma_f32_16x16x32_bf8_fp8 a[140+0:143+0], v[vgprValuB_X0_I0+8+0+0:vgprValuB_X0_I0+8+0+0+1], v[vgprValuA_X0_I0+6+0+0:vgprValuA_X0_I0+6+0+0+1], a[140:143]
/*  mfmaIndex:36  */
/* localReadsVacancy: latencyLeft 2 */
_ds_load_b64 v[vgprValuA_X3_I0_D3+0:vgprValuA_X3_I0_D3+0+1], v[vgprLocalReadAddrA] offset:25344 // L -> Reg lro=24576 swapByteOffset=0 ti=256 vIdx=0 rIdx=3 oIdx=0 buffer=3 iui=0
v_mfma_f32_16x16x32_bf8_fp8 a[144+0:147+0], v[vgprValuB_X0_I0+8+0+0:vgprValuB_X0_I0+8+0+0+1], v[vgprValuA_X0_I0+8+0+0:vgprValuA_X0_I0+8+0+0+1], a[144:147]
/*  mfmaIndex:37  */
/* localReadsVacancy: latencyLeft 2 */
_ds_load_b64 v[vgprValuA_X3_I0_D4+0:vgprValuA_X3_I0_D4+0+1], v[vgprLocalReadAddrA] offset:25600 // L -> Reg lro=24576 swapByteOffset=0 ti=256 vIdx=0 rIdx=4 oIdx=0 buffer=3 iui=0
v_mfma_f32_16x16x32_bf8_fp8 a[148+0:151+0], v[vgprValuB_X0_I0+8+0+0:vgprValuB_X0_I0+8+0+0+1], v[vgprValuA_X0_I0+10+0+0:vgprValuA_X0_I0+10+0+0+1], a[148:151]
/*  mfmaIndex:38  */
/* localReadsVacancy: latencyLeft 2 */
_ds_load_b64 v[vgprValuA_X3_I0_D5+0:vgprValuA_X3_I0_D5+0+1], v[vgprLocalReadAddrA] offset:25856 // L -> Reg lro=24576 swapByteOffset=0 ti=256 vIdx=0 rIdx=5 oIdx=0 buffer=3 iui=0
v_mfma_f32_16x16x32_bf8_fp8 a[152+0:155+0], v[vgprValuB_X0_I0+8+0+0:vgprValuB_X0_I0+8+0+0+1], v[vgprValuA_X0_I0+12+0+0:vgprValuA_X0_I0+12+0+0+1], a[152:155]
/*  mfmaIndex:39  */
/* localReadsVacancy: latencyLeft 2 */
_ds_load_b64 v[vgprValuA_X3_I0_D6+0:vgprValuA_X3_I0_D6+0+1], v[vgprLocalReadAddrA] offset:26112 // L -> Reg lro=24576 swapByteOffset=0 ti=256 vIdx=0 rIdx=6 oIdx=0 buffer=3 iui=0
v_mfma_f32_16x16x32_bf8_fp8 a[156+0:159+0], v[vgprValuB_X0_I0+8+0+0:vgprValuB_X0_I0+8+0+0+1], v[vgprValuA_X0_I0+14+0+0:vgprValuA_X0_I0+14+0+0+1], a[156:159]
/*  mfmaIndex:40  */
/* localReadsVacancy: latencyLeft 2 */
_ds_load_b64 v[vgprValuA_X3_I0_D7+0:vgprValuA_X3_I0_D7+0+1], v[vgprLocalReadAddrA] offset:26368 // L -> Reg lro=24576 swapByteOffset=0 ti=256 vIdx=0 rIdx=7 oIdx=0 buffer=3 iui=0
v_mfma_f32_16x16x32_bf8_fp8 a[188+0:191+0], v[vgprValuB_X0_I0+10+0+0:vgprValuB_X0_I0+10+0+0+1], v[vgprValuA_X0_I0+14+0+0:vgprValuA_X0_I0+14+0+0+1], a[188:191]
/*  mfmaIndex:41  */
/* localReadsVacancy: latencyLeft 2 */
_ds_load_b64 v[vgprValuB_X3_I0_D0+0:vgprValuB_X3_I0_D0+0+1], v[vgprLocalReadAddrB] offset:24576 // L -> Reg lro=24576 swapByteOffset=0 ti=256 vIdx=0 rIdx=0 oIdx=0 buffer=3 iui=0
v_mfma_f32_16x16x32_bf8_fp8 a[184+0:187+0], v[vgprValuB_X0_I0+10+0+0:vgprValuB_X0_I0+10+0+0+1], v[vgprValuA_X0_I0+12+0+0:vgprValuA_X0_I0+12+0+0+1], a[184:187]
/*  mfmaIndex:42  */
/* localReadsVacancy: latencyLeft 2 */
_ds_load_b64 v[vgprValuB_X3_I0_D1+0:vgprValuB_X3_I0_D1+0+1], v[vgprLocalReadAddrB] offset:24832 // L -> Reg lro=24576 swapByteOffset=0 ti=256 vIdx=0 rIdx=1 oIdx=0 buffer=3 iui=0
v_mfma_f32_16x16x32_bf8_fp8 a[180+0:183+0], v[vgprValuB_X0_I0+10+0+0:vgprValuB_X0_I0+10+0+0+1], v[vgprValuA_X0_I0+10+0+0:vgprValuA_X0_I0+10+0+0+1], a[180:183]
/*  mfmaIndex:43  */
/* localReadsVacancy: latencyLeft 2 */
_ds_load_b64 v[vgprValuB_X3_I0_D2+0:vgprValuB_X3_I0_D2+0+1], v[vgprLocalReadAddrB] offset:25088 // L -> Reg lro=24576 swapByteOffset=0 ti=256 vIdx=0 rIdx=2 oIdx=0 buffer=3 iui=0
v_mfma_f32_16x16x32_bf8_fp8 a[176+0:179+0], v[vgprValuB_X0_I0+10+0+0:vgprValuB_X0_I0+10+0+0+1], v[vgprValuA_X0_I0+8+0+0:vgprValuA_X0_I0+8+0+0+1], a[176:179]
/*  mfmaIndex:44  */
/* localReadsVacancy: latencyLeft 2 */
_ds_load_b64 v[vgprValuB_X3_I0_D3+0:vgprValuB_X3_I0_D3+0+1], v[vgprLocalReadAddrB] offset:25344 // L -> Reg lro=24576 swapByteOffset=0 ti=256 vIdx=0 rIdx=3 oIdx=0 buffer=3 iui=0
v_mfma_f32_16x16x32_bf8_fp8 a[172+0:175+0], v[vgprValuB_X0_I0+10+0+0:vgprValuB_X0_I0+10+0+0+1], v[vgprValuA_X0_I0+6+0+0:vgprValuA_X0_I0+6+0+0+1], a[172:175]
/*  mfmaIndex:45  */
/* localReadsVacancy: latencyLeft 2 */
_ds_load_b64 v[vgprValuB_X3_I0_D4+0:vgprValuB_X3_I0_D4+0+1], v[vgprLocalReadAddrB] offset:25600 // L -> Reg lro=24576 swapByteOffset=0 ti=256 vIdx=0 rIdx=4 oIdx=0 buffer=3 iui=0
v_mfma_f32_16x16x32_bf8_fp8 a[168+0:171+0], v[vgprValuB_X0_I0+10+0+0:vgprValuB_X0_I0+10+0+0+1], v[vgprValuA_X0_I0+4+0+0:vgprValuA_X0_I0+4+0+0+1], a[168:171]
/*  mfmaIndex:46  */
/* localReadsVacancy: latencyLeft 2 */
_ds_load_b64 v[vgprValuB_X3_I0_D5+0:vgprValuB_X3_I0_D5+0+1], v[vgprLocalReadAddrB] offset:25856 // L -> Reg lro=24576 swapByteOffset=0 ti=256 vIdx=0 rIdx=5 oIdx=0 buffer=3 iui=0
v_mfma_f32_16x16x32_bf8_fp8 a[164+0:167+0], v[vgprValuB_X0_I0+10+0+0:vgprValuB_X0_I0+10+0+0+1], v[vgprValuA_X0_I0+2+0+0:vgprValuA_X0_I0+2+0+0+1], a[164:167]
/*  mfmaIndex:47  */
/* localReadsVacancy: latencyLeft 2 */
_ds_load_b64 v[vgprValuB_X3_I0_D6+0:vgprValuB_X3_I0_D6+0+1], v[vgprLocalReadAddrB] offset:26112 // L -> Reg lro=24576 swapByteOffset=0 ti=256 vIdx=0 rIdx=6 oIdx=0 buffer=3 iui=0
v_mfma_f32_16x16x32_bf8_fp8 a[160+0:163+0], v[vgprValuB_X0_I0+10+0+0:vgprValuB_X0_I0+10+0+0+1], v[vgprValuA_X0_I0+0+0+0:vgprValuA_X0_I0+0+0+0+1], a[160:163]
/*  mfmaIndex:48  */
/* localReadsVacancy: latencyLeft 2 */
_ds_load_b64 v[vgprValuB_X3_I0_D7+0:vgprValuB_X3_I0_D7+0+1], v[vgprLocalReadAddrB] offset:26368 // L -> Reg lro=24576 swapByteOffset=0 ti=256 vIdx=0 rIdx=7 oIdx=0 buffer=3 iui=0
v_mfma_f32_16x16x32_bf8_fp8 a[192+0:195+0], v[vgprValuB_X0_I0+12+0+0:vgprValuB_X0_I0+12+0+0+1], v[vgprValuA_X0_I0+0+0+0:vgprValuA_X0_I0+0+0+0+1], a[192:195]
/*  mfmaIndex:49  */
/* localReadsVacancy: latencyLeft 2 */
v_mfma_f32_16x16x32_bf8_fp8 a[196+0:199+0], v[vgprValuB_X0_I0+12+0+0:vgprValuB_X0_I0+12+0+0+1], v[vgprValuA_X0_I0+2+0+0:vgprValuA_X0_I0+2+0+0+1], a[196:199]
/*  mfmaIndex:50  */
/* localReadsVacancy: latencyLeft 2 */
	;; [unrolled: 3-line block ×13, first 2 shown]
/* 1 LDS buffer: read-sync-write */
s_waitcnt lgkmcnt(0)                               // 
s_barrier                                          // 
v_mfma_f32_16x16x32_bf8_fp8 a[232+0:235+0], v[vgprValuB_X0_I0+14+0+0:vgprValuB_X0_I0+14+0+0+1], v[vgprValuA_X0_I0+4+0+0:vgprValuA_X0_I0+4+0+0+1], a[232:235]
/*  mfmaIndex:62  */
s_setprio 3                                        // store optimization
/* sched write - iter 0 writesPerItem=1 */
s_waitcnt vmcnt(0)                                 // lgkmcnt=-1 vmcnt=0wait for global read before writing to local
_ds_store_b128 v[vgprLocalWriteAddrA], v[vgprG2LA+0:vgprG2LA+0+3] offset:0 // lwoA_0_0_0_0 = (0*LSCA) + (0*LSPA)(*MT0I+PAD) = 0
v_mfma_f32_16x16x32_bf8_fp8 a[228+0:231+0], v[vgprValuB_X0_I0+14+0+0:vgprValuB_X0_I0+14+0+0+1], v[vgprValuA_X0_I0+2+0+0:vgprValuA_X0_I0+2+0+0+1], a[228:231]
/*  mfmaIndex:63  */
v_mfma_f32_16x16x32_bf8_fp8 a[224+0:227+0], v[vgprValuB_X0_I0+14+0+0:vgprValuB_X0_I0+14+0+0+1], v[vgprValuA_X0_I0+0+0+0:vgprValuA_X0_I0+0+0+0+1], a[224:227]
/* numPrefetchIter=0 */
/* dataAtIterA=-1 numReadsIterA=1 skipReadsIterA=1 readsPerIterA=8 */
/* dataAtIterB=-1 numReadsIterB=1 skipReadsIterB=1 readsPerIterB=8 */


/* iter 1 */

/*  grEndMfmaIndex:12, lwStartMfmaIndex:62, lwEndMfmaIndex:229  */
/*  numMfmaForLR:21, barrierMfmaIndex:234, LocalWritePerMfma:0.090 */
/*  mfmaIndex:64  */
/* pack scheduling: packAIdx:6, packBIdx:6 */
v_perm_b32 v[vgprValuA_X1_I0+0], v[vgprValuA_X1_I0_D1+0], v[vgprValuA_X1_I0_D0+0], s[sgprPackKForV0] // select K=01 for vector=0
v_perm_b32 v[vgprPackTemp], v[vgprValuA_X1_I0_D3+0], v[vgprValuA_X1_I0_D2+0], s[sgprPackKForV0] // select K=23 for vector=0
_v_lshl_or_b32 v[vgprValuA_X1_I0+0], v[vgprPackTemp], 0x10, v[vgprValuA_X1_I0+0] // pack two half Vgpr to one Vgpr
v_perm_b32 v[vgprValuA_X1_I0+1], v[vgprValuA_X1_I0_D5+0], v[vgprValuA_X1_I0_D4+0], s[sgprPackKForV0] // select K=45 for vector=0
v_perm_b32 v[vgprPackTemp], v[vgprValuA_X1_I0_D7+0], v[vgprValuA_X1_I0_D6+0], s[sgprPackKForV0] // select K=67 for vector=0
_v_lshl_or_b32 v[vgprValuA_X1_I0+1], v[vgprPackTemp], 0x10, v[vgprValuA_X1_I0+1] // pack two half Vgpr to one Vgpr
v_perm_b32 v[vgprValuB_X1_I0+0], v[vgprValuB_X1_I0_D1+0], v[vgprValuB_X1_I0_D0+0], s[sgprPackKForV0] // select K=01 for vector=0
v_perm_b32 v[vgprPackTemp], v[vgprValuB_X1_I0_D3+0], v[vgprValuB_X1_I0_D2+0], s[sgprPackKForV0] // select K=23 for vector=0
_v_lshl_or_b32 v[vgprValuB_X1_I0+0], v[vgprPackTemp], 0x10, v[vgprValuB_X1_I0+0] // pack two half Vgpr to one Vgpr
v_perm_b32 v[vgprValuB_X1_I0+1], v[vgprValuB_X1_I0_D5+0], v[vgprValuB_X1_I0_D4+0], s[sgprPackKForV0] // select K=45 for vector=0
v_perm_b32 v[vgprPackTemp], v[vgprValuB_X1_I0_D7+0], v[vgprValuB_X1_I0_D6+0], s[sgprPackKForV0] // select K=67 for vector=0
_v_lshl_or_b32 v[vgprValuB_X1_I0+1], v[vgprPackTemp], 0x10, v[vgprValuB_X1_I0+1] // pack two half Vgpr to one Vgpr
v_perm_b32 v[vgprValuA_X1_I0+2], v[vgprValuA_X1_I0_D1+0], v[vgprValuA_X1_I0_D0+0], s[sgprPackKForV1] // select K=01 for vector=1
v_perm_b32 v[vgprPackTemp], v[vgprValuA_X1_I0_D3+0], v[vgprValuA_X1_I0_D2+0], s[sgprPackKForV1] // select K=23 for vector=1
_v_lshl_or_b32 v[vgprValuA_X1_I0+2], v[vgprPackTemp], 0x10, v[vgprValuA_X1_I0+2] // pack two half Vgpr to one Vgpr
v_perm_b32 v[vgprValuA_X1_I0+3], v[vgprValuA_X1_I0_D5+0], v[vgprValuA_X1_I0_D4+0], s[sgprPackKForV1] // select K=45 for vector=1
v_perm_b32 v[vgprPackTemp], v[vgprValuA_X1_I0_D7+0], v[vgprValuA_X1_I0_D6+0], s[sgprPackKForV1] // select K=67 for vector=1
_v_lshl_or_b32 v[vgprValuA_X1_I0+3], v[vgprPackTemp], 0x10, v[vgprValuA_X1_I0+3] // pack two half Vgpr to one Vgpr
v_mfma_f32_16x16x32_bf8_fp8 a[0+0:3+0], v[vgprValuB_X1_I0+0+0+0:vgprValuB_X1_I0+0+0+0+1], v[vgprValuA_X1_I0+0+0+0:vgprValuA_X1_I0+0+0+0+1], a[0:3]
/*  mfmaIndex:65  */
/* pack scheduling: packAIdx:12, packBIdx:6 */
v_perm_b32 v[vgprValuA_X1_I0+4], v[vgprValuA_X1_I0_D1+0], v[vgprValuA_X1_I0_D0+0], s[sgprPackKForV2] // select K=01 for vector=2
v_perm_b32 v[vgprPackTemp], v[vgprValuA_X1_I0_D3+0], v[vgprValuA_X1_I0_D2+0], s[sgprPackKForV2] // select K=23 for vector=2
_v_lshl_or_b32 v[vgprValuA_X1_I0+4], v[vgprPackTemp], 0x10, v[vgprValuA_X1_I0+4] // pack two half Vgpr to one Vgpr
v_perm_b32 v[vgprValuA_X1_I0+5], v[vgprValuA_X1_I0_D5+0], v[vgprValuA_X1_I0_D4+0], s[sgprPackKForV2] // select K=45 for vector=2
v_perm_b32 v[vgprPackTemp], v[vgprValuA_X1_I0_D7+0], v[vgprValuA_X1_I0_D6+0], s[sgprPackKForV2] // select K=67 for vector=2
_v_lshl_or_b32 v[vgprValuA_X1_I0+5], v[vgprPackTemp], 0x10, v[vgprValuA_X1_I0+5] // pack two half Vgpr to one Vgpr
v_mfma_f32_16x16x32_bf8_fp8 a[4+0:7+0], v[vgprValuB_X1_I0+0+0+0:vgprValuB_X1_I0+0+0+0+1], v[vgprValuA_X1_I0+2+0+0:vgprValuA_X1_I0+2+0+0+1], a[4:7]
/*  mfmaIndex:66  */
/* pack scheduling: packAIdx:18, packBIdx:6 */
v_perm_b32 v[vgprValuA_X1_I0+6], v[vgprValuA_X1_I0_D1+0], v[vgprValuA_X1_I0_D0+0], s[sgprPackKForV3] // select K=01 for vector=3
v_perm_b32 v[vgprPackTemp], v[vgprValuA_X1_I0_D3+0], v[vgprValuA_X1_I0_D2+0], s[sgprPackKForV3] // select K=23 for vector=3
_v_lshl_or_b32 v[vgprValuA_X1_I0+6], v[vgprPackTemp], 0x10, v[vgprValuA_X1_I0+6] // pack two half Vgpr to one Vgpr
v_perm_b32 v[vgprValuA_X1_I0+7], v[vgprValuA_X1_I0_D5+0], v[vgprValuA_X1_I0_D4+0], s[sgprPackKForV3] // select K=45 for vector=3
v_perm_b32 v[vgprPackTemp], v[vgprValuA_X1_I0_D7+0], v[vgprValuA_X1_I0_D6+0], s[sgprPackKForV3] // select K=67 for vector=3
_v_lshl_or_b32 v[vgprValuA_X1_I0+7], v[vgprPackTemp], 0x10, v[vgprValuA_X1_I0+7] // pack two half Vgpr to one Vgpr
v_mfma_f32_16x16x32_bf8_fp8 a[8+0:11+0], v[vgprValuB_X1_I0+0+0+0:vgprValuB_X1_I0+0+0+0+1], v[vgprValuA_X1_I0+4+0+0:vgprValuA_X1_I0+4+0+0+1], a[8:11]
/*  mfmaIndex:67  */
/* pack scheduling: packAIdx:24, packBIdx:6 */
v_perm_b32 v[vgprValuA_X1_I0+8], v[vgprValuA_X1_I0_D1+1], v[vgprValuA_X1_I0_D0+1], s[sgprPackKForV0] // select K=01 for vector=0
v_perm_b32 v[vgprPackTemp], v[vgprValuA_X1_I0_D3+1], v[vgprValuA_X1_I0_D2+1], s[sgprPackKForV0] // select K=23 for vector=0
_v_lshl_or_b32 v[vgprValuA_X1_I0+8], v[vgprPackTemp], 0x10, v[vgprValuA_X1_I0+8] // pack two half Vgpr to one Vgpr
v_perm_b32 v[vgprValuA_X1_I0+9], v[vgprValuA_X1_I0_D5+1], v[vgprValuA_X1_I0_D4+1], s[sgprPackKForV0] // select K=45 for vector=0
v_perm_b32 v[vgprPackTemp], v[vgprValuA_X1_I0_D7+1], v[vgprValuA_X1_I0_D6+1], s[sgprPackKForV0] // select K=67 for vector=0
_v_lshl_or_b32 v[vgprValuA_X1_I0+9], v[vgprPackTemp], 0x10, v[vgprValuA_X1_I0+9] // pack two half Vgpr to one Vgpr
v_mfma_f32_16x16x32_bf8_fp8 a[12+0:15+0], v[vgprValuB_X1_I0+0+0+0:vgprValuB_X1_I0+0+0+0+1], v[vgprValuA_X1_I0+6+0+0:vgprValuA_X1_I0+6+0+0+1], a[12:15]
/*  mfmaIndex:68  */
/* pack scheduling: packAIdx:30, packBIdx:6 */
v_perm_b32 v[vgprValuA_X1_I0+10], v[vgprValuA_X1_I0_D1+1], v[vgprValuA_X1_I0_D0+1], s[sgprPackKForV1] // select K=01 for vector=1
v_perm_b32 v[vgprPackTemp], v[vgprValuA_X1_I0_D3+1], v[vgprValuA_X1_I0_D2+1], s[sgprPackKForV1] // select K=23 for vector=1
_v_lshl_or_b32 v[vgprValuA_X1_I0+10], v[vgprPackTemp], 0x10, v[vgprValuA_X1_I0+10] // pack two half Vgpr to one Vgpr
v_perm_b32 v[vgprValuA_X1_I0+11], v[vgprValuA_X1_I0_D5+1], v[vgprValuA_X1_I0_D4+1], s[sgprPackKForV1] // select K=45 for vector=1
v_perm_b32 v[vgprPackTemp], v[vgprValuA_X1_I0_D7+1], v[vgprValuA_X1_I0_D6+1], s[sgprPackKForV1] // select K=67 for vector=1
_v_lshl_or_b32 v[vgprValuA_X1_I0+11], v[vgprPackTemp], 0x10, v[vgprValuA_X1_I0+11] // pack two half Vgpr to one Vgpr
v_mfma_f32_16x16x32_bf8_fp8 a[16+0:19+0], v[vgprValuB_X1_I0+0+0+0:vgprValuB_X1_I0+0+0+0+1], v[vgprValuA_X1_I0+8+0+0:vgprValuA_X1_I0+8+0+0+1], a[16:19]
/*  mfmaIndex:69  */
/* pack scheduling: packAIdx:36, packBIdx:6 */
v_perm_b32 v[vgprValuA_X1_I0+12], v[vgprValuA_X1_I0_D1+1], v[vgprValuA_X1_I0_D0+1], s[sgprPackKForV2] // select K=01 for vector=2
v_perm_b32 v[vgprPackTemp], v[vgprValuA_X1_I0_D3+1], v[vgprValuA_X1_I0_D2+1], s[sgprPackKForV2] // select K=23 for vector=2
_v_lshl_or_b32 v[vgprValuA_X1_I0+12], v[vgprPackTemp], 0x10, v[vgprValuA_X1_I0+12] // pack two half Vgpr to one Vgpr
v_perm_b32 v[vgprValuA_X1_I0+13], v[vgprValuA_X1_I0_D5+1], v[vgprValuA_X1_I0_D4+1], s[sgprPackKForV2] // select K=45 for vector=2
v_perm_b32 v[vgprPackTemp], v[vgprValuA_X1_I0_D7+1], v[vgprValuA_X1_I0_D6+1], s[sgprPackKForV2] // select K=67 for vector=2
_v_lshl_or_b32 v[vgprValuA_X1_I0+13], v[vgprPackTemp], 0x10, v[vgprValuA_X1_I0+13] // pack two half Vgpr to one Vgpr
v_mfma_f32_16x16x32_bf8_fp8 a[20+0:23+0], v[vgprValuB_X1_I0+0+0+0:vgprValuB_X1_I0+0+0+0+1], v[vgprValuA_X1_I0+10+0+0:vgprValuA_X1_I0+10+0+0+1], a[20:23]
/*  mfmaIndex:70  */
/* pack scheduling: packAIdx:42, packBIdx:6 */
v_perm_b32 v[vgprValuA_X1_I0+14], v[vgprValuA_X1_I0_D1+1], v[vgprValuA_X1_I0_D0+1], s[sgprPackKForV3] // select K=01 for vector=3
v_perm_b32 v[vgprPackTemp], v[vgprValuA_X1_I0_D3+1], v[vgprValuA_X1_I0_D2+1], s[sgprPackKForV3] // select K=23 for vector=3
_v_lshl_or_b32 v[vgprValuA_X1_I0+14], v[vgprPackTemp], 0x10, v[vgprValuA_X1_I0+14] // pack two half Vgpr to one Vgpr
v_perm_b32 v[vgprValuA_X1_I0+15], v[vgprValuA_X1_I0_D5+1], v[vgprValuA_X1_I0_D4+1], s[sgprPackKForV3] // select K=45 for vector=3
v_perm_b32 v[vgprPackTemp], v[vgprValuA_X1_I0_D7+1], v[vgprValuA_X1_I0_D6+1], s[sgprPackKForV3] // select K=67 for vector=3
_v_lshl_or_b32 v[vgprValuA_X1_I0+15], v[vgprPackTemp], 0x10, v[vgprValuA_X1_I0+15] // pack two half Vgpr to one Vgpr
v_mfma_f32_16x16x32_bf8_fp8 a[24+0:27+0], v[vgprValuB_X1_I0+0+0+0:vgprValuB_X1_I0+0+0+0+1], v[vgprValuA_X1_I0+12+0+0:vgprValuA_X1_I0+12+0+0+1], a[24:27]
/*  mfmaIndex:71  */
/* pack scheduling: packAIdx:48, packBIdx:6 */
v_perm_b32 v[vgprValuB_X1_I0+2], v[vgprValuB_X1_I0_D1+0], v[vgprValuB_X1_I0_D0+0], s[sgprPackKForV1] // select K=01 for vector=1
v_perm_b32 v[vgprPackTemp], v[vgprValuB_X1_I0_D3+0], v[vgprValuB_X1_I0_D2+0], s[sgprPackKForV1] // select K=23 for vector=1
_v_lshl_or_b32 v[vgprValuB_X1_I0+2], v[vgprPackTemp], 0x10, v[vgprValuB_X1_I0+2] // pack two half Vgpr to one Vgpr
v_perm_b32 v[vgprValuB_X1_I0+3], v[vgprValuB_X1_I0_D5+0], v[vgprValuB_X1_I0_D4+0], s[sgprPackKForV1] // select K=45 for vector=1
v_perm_b32 v[vgprPackTemp], v[vgprValuB_X1_I0_D7+0], v[vgprValuB_X1_I0_D6+0], s[sgprPackKForV1] // select K=67 for vector=1
_v_lshl_or_b32 v[vgprValuB_X1_I0+3], v[vgprPackTemp], 0x10, v[vgprValuB_X1_I0+3] // pack two half Vgpr to one Vgpr
v_mfma_f32_16x16x32_bf8_fp8 a[28+0:31+0], v[vgprValuB_X1_I0+0+0+0:vgprValuB_X1_I0+0+0+0+1], v[vgprValuA_X1_I0+14+0+0:vgprValuA_X1_I0+14+0+0+1], a[28:31]
/*  mfmaIndex:72  */
/* pack scheduling: packAIdx:48, packBIdx:12 */
v_perm_b32 v[vgprValuB_X1_I0+4], v[vgprValuB_X1_I0_D1+0], v[vgprValuB_X1_I0_D0+0], s[sgprPackKForV2] // select K=01 for vector=2
v_perm_b32 v[vgprPackTemp], v[vgprValuB_X1_I0_D3+0], v[vgprValuB_X1_I0_D2+0], s[sgprPackKForV2] // select K=23 for vector=2
_v_lshl_or_b32 v[vgprValuB_X1_I0+4], v[vgprPackTemp], 0x10, v[vgprValuB_X1_I0+4] // pack two half Vgpr to one Vgpr
v_perm_b32 v[vgprValuB_X1_I0+5], v[vgprValuB_X1_I0_D5+0], v[vgprValuB_X1_I0_D4+0], s[sgprPackKForV2] // select K=45 for vector=2
v_perm_b32 v[vgprPackTemp], v[vgprValuB_X1_I0_D7+0], v[vgprValuB_X1_I0_D6+0], s[sgprPackKForV2] // select K=67 for vector=2
_v_lshl_or_b32 v[vgprValuB_X1_I0+5], v[vgprPackTemp], 0x10, v[vgprValuB_X1_I0+5] // pack two half Vgpr to one Vgpr
v_mfma_f32_16x16x32_bf8_fp8 a[60+0:63+0], v[vgprValuB_X1_I0+2+0+0:vgprValuB_X1_I0+2+0+0+1], v[vgprValuA_X1_I0+14+0+0:vgprValuA_X1_I0+14+0+0+1], a[60:63]
/*  mfmaIndex:73  */
/* sched write - iter 1 writesPerItem=1 */
s_waitcnt vmcnt(0)                                 // lgkmcnt=-1 vmcnt=0wait for global read before writing to local
_ds_store_b128 v[vgprLocalWriteAddrA], v[vgprG2LA+4:vgprG2LA+4+3] offset:1024 // lwoA_0_0_1_0 = (0*LSCA) + (1*LSPA)(*MT0I+PAD) = 1024
/* pack scheduling: packAIdx:48, packBIdx:12 */
v_perm_b32 v[vgprValuB_X1_I0+6], v[vgprValuB_X1_I0_D1+0], v[vgprValuB_X1_I0_D0+0], s[sgprPackKForV3] // select K=01 for vector=3
v_perm_b32 v[vgprPackTemp], v[vgprValuB_X1_I0_D3+0], v[vgprValuB_X1_I0_D2+0], s[sgprPackKForV3] // select K=23 for vector=3
_v_lshl_or_b32 v[vgprValuB_X1_I0+6], v[vgprPackTemp], 0x10, v[vgprValuB_X1_I0+6] // pack two half Vgpr to one Vgpr
v_perm_b32 v[vgprValuB_X1_I0+7], v[vgprValuB_X1_I0_D5+0], v[vgprValuB_X1_I0_D4+0], s[sgprPackKForV3] // select K=45 for vector=3
v_perm_b32 v[vgprPackTemp], v[vgprValuB_X1_I0_D7+0], v[vgprValuB_X1_I0_D6+0], s[sgprPackKForV3] // select K=67 for vector=3
_v_lshl_or_b32 v[vgprValuB_X1_I0+7], v[vgprPackTemp], 0x10, v[vgprValuB_X1_I0+7] // pack two half Vgpr to one Vgpr
v_mfma_f32_16x16x32_bf8_fp8 a[56+0:59+0], v[vgprValuB_X1_I0+2+0+0:vgprValuB_X1_I0+2+0+0+1], v[vgprValuA_X1_I0+12+0+0:vgprValuA_X1_I0+12+0+0+1], a[56:59]
/*  mfmaIndex:74  */
/* pack scheduling: packAIdx:48, packBIdx:12 */
v_perm_b32 v[vgprValuB_X1_I0+8], v[vgprValuB_X1_I0_D1+1], v[vgprValuB_X1_I0_D0+1], s[sgprPackKForV0] // select K=01 for vector=0
v_perm_b32 v[vgprPackTemp], v[vgprValuB_X1_I0_D3+1], v[vgprValuB_X1_I0_D2+1], s[sgprPackKForV0] // select K=23 for vector=0
_v_lshl_or_b32 v[vgprValuB_X1_I0+8], v[vgprPackTemp], 0x10, v[vgprValuB_X1_I0+8] // pack two half Vgpr to one Vgpr
v_perm_b32 v[vgprValuB_X1_I0+9], v[vgprValuB_X1_I0_D5+1], v[vgprValuB_X1_I0_D4+1], s[sgprPackKForV0] // select K=45 for vector=0
v_perm_b32 v[vgprPackTemp], v[vgprValuB_X1_I0_D7+1], v[vgprValuB_X1_I0_D6+1], s[sgprPackKForV0] // select K=67 for vector=0
_v_lshl_or_b32 v[vgprValuB_X1_I0+9], v[vgprPackTemp], 0x10, v[vgprValuB_X1_I0+9] // pack two half Vgpr to one Vgpr
v_mfma_f32_16x16x32_bf8_fp8 a[52+0:55+0], v[vgprValuB_X1_I0+2+0+0:vgprValuB_X1_I0+2+0+0+1], v[vgprValuA_X1_I0+10+0+0:vgprValuA_X1_I0+10+0+0+1], a[52:55]
/*  mfmaIndex:75  */
/* pack scheduling: packAIdx:48, packBIdx:12 */
v_perm_b32 v[vgprValuB_X1_I0+10], v[vgprValuB_X1_I0_D1+1], v[vgprValuB_X1_I0_D0+1], s[sgprPackKForV1] // select K=01 for vector=1
v_perm_b32 v[vgprPackTemp], v[vgprValuB_X1_I0_D3+1], v[vgprValuB_X1_I0_D2+1], s[sgprPackKForV1] // select K=23 for vector=1
_v_lshl_or_b32 v[vgprValuB_X1_I0+10], v[vgprPackTemp], 0x10, v[vgprValuB_X1_I0+10] // pack two half Vgpr to one Vgpr
v_perm_b32 v[vgprValuB_X1_I0+11], v[vgprValuB_X1_I0_D5+1], v[vgprValuB_X1_I0_D4+1], s[sgprPackKForV1] // select K=45 for vector=1
v_perm_b32 v[vgprPackTemp], v[vgprValuB_X1_I0_D7+1], v[vgprValuB_X1_I0_D6+1], s[sgprPackKForV1] // select K=67 for vector=1
_v_lshl_or_b32 v[vgprValuB_X1_I0+11], v[vgprPackTemp], 0x10, v[vgprValuB_X1_I0+11] // pack two half Vgpr to one Vgpr
v_mfma_f32_16x16x32_bf8_fp8 a[48+0:51+0], v[vgprValuB_X1_I0+2+0+0:vgprValuB_X1_I0+2+0+0+1], v[vgprValuA_X1_I0+8+0+0:vgprValuA_X1_I0+8+0+0+1], a[48:51]
/*  mfmaIndex:76  */
/* pack scheduling: packAIdx:48, packBIdx:12 */
v_perm_b32 v[vgprValuB_X1_I0+12], v[vgprValuB_X1_I0_D1+1], v[vgprValuB_X1_I0_D0+1], s[sgprPackKForV2] // select K=01 for vector=2
v_perm_b32 v[vgprPackTemp], v[vgprValuB_X1_I0_D3+1], v[vgprValuB_X1_I0_D2+1], s[sgprPackKForV2] // select K=23 for vector=2
_v_lshl_or_b32 v[vgprValuB_X1_I0+12], v[vgprPackTemp], 0x10, v[vgprValuB_X1_I0+12] // pack two half Vgpr to one Vgpr
v_perm_b32 v[vgprValuB_X1_I0+13], v[vgprValuB_X1_I0_D5+1], v[vgprValuB_X1_I0_D4+1], s[sgprPackKForV2] // select K=45 for vector=2
v_perm_b32 v[vgprPackTemp], v[vgprValuB_X1_I0_D7+1], v[vgprValuB_X1_I0_D6+1], s[sgprPackKForV2] // select K=67 for vector=2
_v_lshl_or_b32 v[vgprValuB_X1_I0+13], v[vgprPackTemp], 0x10, v[vgprValuB_X1_I0+13] // pack two half Vgpr to one Vgpr
v_mfma_f32_16x16x32_bf8_fp8 a[44+0:47+0], v[vgprValuB_X1_I0+2+0+0:vgprValuB_X1_I0+2+0+0+1], v[vgprValuA_X1_I0+6+0+0:vgprValuA_X1_I0+6+0+0+1], a[44:47]
/*  mfmaIndex:77  */
/* pack scheduling: packAIdx:48, packBIdx:12 */
v_perm_b32 v[vgprValuB_X1_I0+14], v[vgprValuB_X1_I0_D1+1], v[vgprValuB_X1_I0_D0+1], s[sgprPackKForV3] // select K=01 for vector=3
v_perm_b32 v[vgprPackTemp], v[vgprValuB_X1_I0_D3+1], v[vgprValuB_X1_I0_D2+1], s[sgprPackKForV3] // select K=23 for vector=3
_v_lshl_or_b32 v[vgprValuB_X1_I0+14], v[vgprPackTemp], 0x10, v[vgprValuB_X1_I0+14] // pack two half Vgpr to one Vgpr
v_perm_b32 v[vgprValuB_X1_I0+15], v[vgprValuB_X1_I0_D5+1], v[vgprValuB_X1_I0_D4+1], s[sgprPackKForV3] // select K=45 for vector=3
v_perm_b32 v[vgprPackTemp], v[vgprValuB_X1_I0_D7+1], v[vgprValuB_X1_I0_D6+1], s[sgprPackKForV3] // select K=67 for vector=3
_v_lshl_or_b32 v[vgprValuB_X1_I0+15], v[vgprPackTemp], 0x10, v[vgprValuB_X1_I0+15] // pack two half Vgpr to one Vgpr
v_mfma_f32_16x16x32_bf8_fp8 a[40+0:43+0], v[vgprValuB_X1_I0+2+0+0:vgprValuB_X1_I0+2+0+0+1], v[vgprValuA_X1_I0+4+0+0:vgprValuA_X1_I0+4+0+0+1], a[40:43]
/*  mfmaIndex:78  */
v_mfma_f32_16x16x32_bf8_fp8 a[36+0:39+0], v[vgprValuB_X1_I0+2+0+0:vgprValuB_X1_I0+2+0+0+1], v[vgprValuA_X1_I0+2+0+0:vgprValuA_X1_I0+2+0+0+1], a[36:39]
/*  mfmaIndex:79  */
	;; [unrolled: 2-line block ×7, first 2 shown]
/* sched write - iter 1 writesPerItem=1 */
s_waitcnt vmcnt(0)                                 // lgkmcnt=-1 vmcnt=0wait for global read before writing to local
_ds_store_b128 v[vgprLocalWriteAddrA], v[vgprG2LA+8:vgprG2LA+8+3] offset:2048 // lwoA_0_0_2_0 = (0*LSCA) + (2*LSPA)(*MT0I+PAD) = 2048
v_mfma_f32_16x16x32_bf8_fp8 a[80+0:83+0], v[vgprValuB_X1_I0+4+0+0:vgprValuB_X1_I0+4+0+0+1], v[vgprValuA_X1_I0+8+0+0:vgprValuA_X1_I0+8+0+0+1], a[80:83]
/*  mfmaIndex:85  */
v_mfma_f32_16x16x32_bf8_fp8 a[84+0:87+0], v[vgprValuB_X1_I0+4+0+0:vgprValuB_X1_I0+4+0+0+1], v[vgprValuA_X1_I0+10+0+0:vgprValuA_X1_I0+10+0+0+1], a[84:87]
/*  mfmaIndex:86  */
	;; [unrolled: 2-line block ×11, first 2 shown]
/* sched write - iter 1 writesPerItem=1 */
s_waitcnt vmcnt(0)                                 // lgkmcnt=-1 vmcnt=0wait for global read before writing to local
_ds_store_b128 v[vgprLocalWriteAddrA], v[vgprG2LA+12:vgprG2LA+12+3] offset:3072 // lwoA_0_0_3_0 = (0*LSCA) + (3*LSPA)(*MT0I+PAD) = 3072
v_mfma_f32_16x16x32_bf8_fp8 a[96+0:99+0], v[vgprValuB_X1_I0+6+0+0:vgprValuB_X1_I0+6+0+0+1], v[vgprValuA_X1_I0+0+0+0:vgprValuA_X1_I0+0+0+0+1], a[96:99]
/*  mfmaIndex:96  */
v_mfma_f32_16x16x32_bf8_fp8 a[128+0:131+0], v[vgprValuB_X1_I0+8+0+0:vgprValuB_X1_I0+8+0+0+1], v[vgprValuA_X1_I0+0+0+0:vgprValuA_X1_I0+0+0+0+1], a[128:131]
/*  mfmaIndex:97  */
	;; [unrolled: 2-line block ×11, first 2 shown]
/* sched write - iter 1 writesPerItem=1 */
s_waitcnt vmcnt(0)                                 // lgkmcnt=-1 vmcnt=0wait for global read before writing to local
_ds_store_b128 v[vgprLocalWriteAddrA], v[vgprG2LA+16:vgprG2LA+16+3] offset:4096 // lwoA_0_0_4_0 = (0*LSCA) + (4*LSPA)(*MT0I+PAD) = 4096
v_mfma_f32_16x16x32_bf8_fp8 a[180+0:183+0], v[vgprValuB_X1_I0+10+0+0:vgprValuB_X1_I0+10+0+0+1], v[vgprValuA_X1_I0+10+0+0:vgprValuA_X1_I0+10+0+0+1], a[180:183]
/*  mfmaIndex:107  */
v_mfma_f32_16x16x32_bf8_fp8 a[176+0:179+0], v[vgprValuB_X1_I0+10+0+0:vgprValuB_X1_I0+10+0+0+1], v[vgprValuA_X1_I0+8+0+0:vgprValuA_X1_I0+8+0+0+1], a[176:179]
/*  mfmaIndex:108  */
	;; [unrolled: 2-line block ×11, first 2 shown]
/* sched write - iter 1 writesPerItem=1 */
s_waitcnt vmcnt(0)                                 // lgkmcnt=-1 vmcnt=0wait for global read before writing to local
_ds_store_b128 v[vgprLocalWriteAddrA], v[vgprG2LA+20:vgprG2LA+20+3] offset:5120 // lwoA_0_0_5_0 = (0*LSCA) + (5*LSPA)(*MT0I+PAD) = 5120
v_mfma_f32_16x16x32_bf8_fp8 a[212+0:215+0], v[vgprValuB_X1_I0+12+0+0:vgprValuB_X1_I0+12+0+0+1], v[vgprValuA_X1_I0+10+0+0:vgprValuA_X1_I0+10+0+0+1], a[212:215]
/*  mfmaIndex:118  */
v_mfma_f32_16x16x32_bf8_fp8 a[216+0:219+0], v[vgprValuB_X1_I0+12+0+0:vgprValuB_X1_I0+12+0+0+1], v[vgprValuA_X1_I0+12+0+0:vgprValuA_X1_I0+12+0+0+1], a[216:219]
/*  mfmaIndex:119  */
	;; [unrolled: 2-line block ×10, first 2 shown]
v_mfma_f32_16x16x32_bf8_fp8 a[224+0:227+0], v[vgprValuB_X1_I0+14+0+0:vgprValuB_X1_I0+14+0+0+1], v[vgprValuA_X1_I0+0+0+0:vgprValuA_X1_I0+0+0+0+1], a[224:227]


/* iter 2 (reset local read pointers iteration)  (swap local read pointers iteration)  */

/*  grEndMfmaIndex:12, lwStartMfmaIndex:62, lwEndMfmaIndex:229  */
/*  numMfmaForLR:21, barrierMfmaIndex:234, LocalWritePerMfma:0.090 */
/*  mfmaIndex:128  */
/* sched write - iter 2 writesPerItem=1 */
s_waitcnt vmcnt(0)                                 // lgkmcnt=-1 vmcnt=0wait for global read before writing to local
_ds_store_b128 v[vgprLocalWriteAddrA], v[vgprG2LA+24:vgprG2LA+24+3] offset:6144 // lwoA_0_0_6_0 = (0*LSCA) + (6*LSPA)(*MT0I+PAD) = 6144
/* pack scheduling: packAIdx:6, packBIdx:6 */
v_perm_b32 v[vgprValuA_X2_I0+0], v[vgprValuA_X2_I0_D1+0], v[vgprValuA_X2_I0_D0+0], s[sgprPackKForV0] // select K=01 for vector=0
v_perm_b32 v[vgprPackTemp], v[vgprValuA_X2_I0_D3+0], v[vgprValuA_X2_I0_D2+0], s[sgprPackKForV0] // select K=23 for vector=0
_v_lshl_or_b32 v[vgprValuA_X2_I0+0], v[vgprPackTemp], 0x10, v[vgprValuA_X2_I0+0] // pack two half Vgpr to one Vgpr
v_perm_b32 v[vgprValuA_X2_I0+1], v[vgprValuA_X2_I0_D5+0], v[vgprValuA_X2_I0_D4+0], s[sgprPackKForV0] // select K=45 for vector=0
v_perm_b32 v[vgprPackTemp], v[vgprValuA_X2_I0_D7+0], v[vgprValuA_X2_I0_D6+0], s[sgprPackKForV0] // select K=67 for vector=0
_v_lshl_or_b32 v[vgprValuA_X2_I0+1], v[vgprPackTemp], 0x10, v[vgprValuA_X2_I0+1] // pack two half Vgpr to one Vgpr
v_perm_b32 v[vgprValuB_X2_I0+0], v[vgprValuB_X2_I0_D1+0], v[vgprValuB_X2_I0_D0+0], s[sgprPackKForV0] // select K=01 for vector=0
v_perm_b32 v[vgprPackTemp], v[vgprValuB_X2_I0_D3+0], v[vgprValuB_X2_I0_D2+0], s[sgprPackKForV0] // select K=23 for vector=0
_v_lshl_or_b32 v[vgprValuB_X2_I0+0], v[vgprPackTemp], 0x10, v[vgprValuB_X2_I0+0] // pack two half Vgpr to one Vgpr
v_perm_b32 v[vgprValuB_X2_I0+1], v[vgprValuB_X2_I0_D5+0], v[vgprValuB_X2_I0_D4+0], s[sgprPackKForV0] // select K=45 for vector=0
v_perm_b32 v[vgprPackTemp], v[vgprValuB_X2_I0_D7+0], v[vgprValuB_X2_I0_D6+0], s[sgprPackKForV0] // select K=67 for vector=0
_v_lshl_or_b32 v[vgprValuB_X2_I0+1], v[vgprPackTemp], 0x10, v[vgprValuB_X2_I0+1] // pack two half Vgpr to one Vgpr
v_perm_b32 v[vgprValuA_X2_I0+2], v[vgprValuA_X2_I0_D1+0], v[vgprValuA_X2_I0_D0+0], s[sgprPackKForV1] // select K=01 for vector=1
v_perm_b32 v[vgprPackTemp], v[vgprValuA_X2_I0_D3+0], v[vgprValuA_X2_I0_D2+0], s[sgprPackKForV1] // select K=23 for vector=1
_v_lshl_or_b32 v[vgprValuA_X2_I0+2], v[vgprPackTemp], 0x10, v[vgprValuA_X2_I0+2] // pack two half Vgpr to one Vgpr
v_perm_b32 v[vgprValuA_X2_I0+3], v[vgprValuA_X2_I0_D5+0], v[vgprValuA_X2_I0_D4+0], s[sgprPackKForV1] // select K=45 for vector=1
v_perm_b32 v[vgprPackTemp], v[vgprValuA_X2_I0_D7+0], v[vgprValuA_X2_I0_D6+0], s[sgprPackKForV1] // select K=67 for vector=1
_v_lshl_or_b32 v[vgprValuA_X2_I0+3], v[vgprPackTemp], 0x10, v[vgprValuA_X2_I0+3] // pack two half Vgpr to one Vgpr
v_mfma_f32_16x16x32_bf8_fp8 a[0+0:3+0], v[vgprValuB_X2_I0+0+0+0:vgprValuB_X2_I0+0+0+0+1], v[vgprValuA_X2_I0+0+0+0:vgprValuA_X2_I0+0+0+0+1], a[0:3]
/*  mfmaIndex:129  */
/* pack scheduling: packAIdx:12, packBIdx:6 */
v_perm_b32 v[vgprValuA_X2_I0+4], v[vgprValuA_X2_I0_D1+0], v[vgprValuA_X2_I0_D0+0], s[sgprPackKForV2] // select K=01 for vector=2
v_perm_b32 v[vgprPackTemp], v[vgprValuA_X2_I0_D3+0], v[vgprValuA_X2_I0_D2+0], s[sgprPackKForV2] // select K=23 for vector=2
_v_lshl_or_b32 v[vgprValuA_X2_I0+4], v[vgprPackTemp], 0x10, v[vgprValuA_X2_I0+4] // pack two half Vgpr to one Vgpr
v_perm_b32 v[vgprValuA_X2_I0+5], v[vgprValuA_X2_I0_D5+0], v[vgprValuA_X2_I0_D4+0], s[sgprPackKForV2] // select K=45 for vector=2
v_perm_b32 v[vgprPackTemp], v[vgprValuA_X2_I0_D7+0], v[vgprValuA_X2_I0_D6+0], s[sgprPackKForV2] // select K=67 for vector=2
_v_lshl_or_b32 v[vgprValuA_X2_I0+5], v[vgprPackTemp], 0x10, v[vgprValuA_X2_I0+5] // pack two half Vgpr to one Vgpr
v_mfma_f32_16x16x32_bf8_fp8 a[4+0:7+0], v[vgprValuB_X2_I0+0+0+0:vgprValuB_X2_I0+0+0+0+1], v[vgprValuA_X2_I0+2+0+0:vgprValuA_X2_I0+2+0+0+1], a[4:7]
/*  mfmaIndex:130  */
/* pack scheduling: packAIdx:18, packBIdx:6 */
v_perm_b32 v[vgprValuA_X2_I0+6], v[vgprValuA_X2_I0_D1+0], v[vgprValuA_X2_I0_D0+0], s[sgprPackKForV3] // select K=01 for vector=3
v_perm_b32 v[vgprPackTemp], v[vgprValuA_X2_I0_D3+0], v[vgprValuA_X2_I0_D2+0], s[sgprPackKForV3] // select K=23 for vector=3
_v_lshl_or_b32 v[vgprValuA_X2_I0+6], v[vgprPackTemp], 0x10, v[vgprValuA_X2_I0+6] // pack two half Vgpr to one Vgpr
v_perm_b32 v[vgprValuA_X2_I0+7], v[vgprValuA_X2_I0_D5+0], v[vgprValuA_X2_I0_D4+0], s[sgprPackKForV3] // select K=45 for vector=3
v_perm_b32 v[vgprPackTemp], v[vgprValuA_X2_I0_D7+0], v[vgprValuA_X2_I0_D6+0], s[sgprPackKForV3] // select K=67 for vector=3
_v_lshl_or_b32 v[vgprValuA_X2_I0+7], v[vgprPackTemp], 0x10, v[vgprValuA_X2_I0+7] // pack two half Vgpr to one Vgpr
v_mfma_f32_16x16x32_bf8_fp8 a[8+0:11+0], v[vgprValuB_X2_I0+0+0+0:vgprValuB_X2_I0+0+0+0+1], v[vgprValuA_X2_I0+4+0+0:vgprValuA_X2_I0+4+0+0+1], a[8:11]
/*  mfmaIndex:131  */
/* pack scheduling: packAIdx:24, packBIdx:6 */
v_perm_b32 v[vgprValuA_X2_I0+8], v[vgprValuA_X2_I0_D1+1], v[vgprValuA_X2_I0_D0+1], s[sgprPackKForV0] // select K=01 for vector=0
v_perm_b32 v[vgprPackTemp], v[vgprValuA_X2_I0_D3+1], v[vgprValuA_X2_I0_D2+1], s[sgprPackKForV0] // select K=23 for vector=0
_v_lshl_or_b32 v[vgprValuA_X2_I0+8], v[vgprPackTemp], 0x10, v[vgprValuA_X2_I0+8] // pack two half Vgpr to one Vgpr
v_perm_b32 v[vgprValuA_X2_I0+9], v[vgprValuA_X2_I0_D5+1], v[vgprValuA_X2_I0_D4+1], s[sgprPackKForV0] // select K=45 for vector=0
v_perm_b32 v[vgprPackTemp], v[vgprValuA_X2_I0_D7+1], v[vgprValuA_X2_I0_D6+1], s[sgprPackKForV0] // select K=67 for vector=0
_v_lshl_or_b32 v[vgprValuA_X2_I0+9], v[vgprPackTemp], 0x10, v[vgprValuA_X2_I0+9] // pack two half Vgpr to one Vgpr
v_mfma_f32_16x16x32_bf8_fp8 a[12+0:15+0], v[vgprValuB_X2_I0+0+0+0:vgprValuB_X2_I0+0+0+0+1], v[vgprValuA_X2_I0+6+0+0:vgprValuA_X2_I0+6+0+0+1], a[12:15]
/*  mfmaIndex:132  */
/* pack scheduling: packAIdx:30, packBIdx:6 */
v_perm_b32 v[vgprValuA_X2_I0+10], v[vgprValuA_X2_I0_D1+1], v[vgprValuA_X2_I0_D0+1], s[sgprPackKForV1] // select K=01 for vector=1
v_perm_b32 v[vgprPackTemp], v[vgprValuA_X2_I0_D3+1], v[vgprValuA_X2_I0_D2+1], s[sgprPackKForV1] // select K=23 for vector=1
_v_lshl_or_b32 v[vgprValuA_X2_I0+10], v[vgprPackTemp], 0x10, v[vgprValuA_X2_I0+10] // pack two half Vgpr to one Vgpr
v_perm_b32 v[vgprValuA_X2_I0+11], v[vgprValuA_X2_I0_D5+1], v[vgprValuA_X2_I0_D4+1], s[sgprPackKForV1] // select K=45 for vector=1
v_perm_b32 v[vgprPackTemp], v[vgprValuA_X2_I0_D7+1], v[vgprValuA_X2_I0_D6+1], s[sgprPackKForV1] // select K=67 for vector=1
_v_lshl_or_b32 v[vgprValuA_X2_I0+11], v[vgprPackTemp], 0x10, v[vgprValuA_X2_I0+11] // pack two half Vgpr to one Vgpr
v_mfma_f32_16x16x32_bf8_fp8 a[16+0:19+0], v[vgprValuB_X2_I0+0+0+0:vgprValuB_X2_I0+0+0+0+1], v[vgprValuA_X2_I0+8+0+0:vgprValuA_X2_I0+8+0+0+1], a[16:19]
/*  mfmaIndex:133  */
/* pack scheduling: packAIdx:36, packBIdx:6 */
v_perm_b32 v[vgprValuA_X2_I0+12], v[vgprValuA_X2_I0_D1+1], v[vgprValuA_X2_I0_D0+1], s[sgprPackKForV2] // select K=01 for vector=2
v_perm_b32 v[vgprPackTemp], v[vgprValuA_X2_I0_D3+1], v[vgprValuA_X2_I0_D2+1], s[sgprPackKForV2] // select K=23 for vector=2
_v_lshl_or_b32 v[vgprValuA_X2_I0+12], v[vgprPackTemp], 0x10, v[vgprValuA_X2_I0+12] // pack two half Vgpr to one Vgpr
v_perm_b32 v[vgprValuA_X2_I0+13], v[vgprValuA_X2_I0_D5+1], v[vgprValuA_X2_I0_D4+1], s[sgprPackKForV2] // select K=45 for vector=2
v_perm_b32 v[vgprPackTemp], v[vgprValuA_X2_I0_D7+1], v[vgprValuA_X2_I0_D6+1], s[sgprPackKForV2] // select K=67 for vector=2
_v_lshl_or_b32 v[vgprValuA_X2_I0+13], v[vgprPackTemp], 0x10, v[vgprValuA_X2_I0+13] // pack two half Vgpr to one Vgpr
v_mfma_f32_16x16x32_bf8_fp8 a[20+0:23+0], v[vgprValuB_X2_I0+0+0+0:vgprValuB_X2_I0+0+0+0+1], v[vgprValuA_X2_I0+10+0+0:vgprValuA_X2_I0+10+0+0+1], a[20:23]
/*  mfmaIndex:134  */
/* pack scheduling: packAIdx:42, packBIdx:6 */
v_perm_b32 v[vgprValuA_X2_I0+14], v[vgprValuA_X2_I0_D1+1], v[vgprValuA_X2_I0_D0+1], s[sgprPackKForV3] // select K=01 for vector=3
v_perm_b32 v[vgprPackTemp], v[vgprValuA_X2_I0_D3+1], v[vgprValuA_X2_I0_D2+1], s[sgprPackKForV3] // select K=23 for vector=3
_v_lshl_or_b32 v[vgprValuA_X2_I0+14], v[vgprPackTemp], 0x10, v[vgprValuA_X2_I0+14] // pack two half Vgpr to one Vgpr
v_perm_b32 v[vgprValuA_X2_I0+15], v[vgprValuA_X2_I0_D5+1], v[vgprValuA_X2_I0_D4+1], s[sgprPackKForV3] // select K=45 for vector=3
v_perm_b32 v[vgprPackTemp], v[vgprValuA_X2_I0_D7+1], v[vgprValuA_X2_I0_D6+1], s[sgprPackKForV3] // select K=67 for vector=3
_v_lshl_or_b32 v[vgprValuA_X2_I0+15], v[vgprPackTemp], 0x10, v[vgprValuA_X2_I0+15] // pack two half Vgpr to one Vgpr
v_mfma_f32_16x16x32_bf8_fp8 a[24+0:27+0], v[vgprValuB_X2_I0+0+0+0:vgprValuB_X2_I0+0+0+0+1], v[vgprValuA_X2_I0+12+0+0:vgprValuA_X2_I0+12+0+0+1], a[24:27]
/*  mfmaIndex:135  */
/* pack scheduling: packAIdx:48, packBIdx:6 */
v_perm_b32 v[vgprValuB_X2_I0+2], v[vgprValuB_X2_I0_D1+0], v[vgprValuB_X2_I0_D0+0], s[sgprPackKForV1] // select K=01 for vector=1
v_perm_b32 v[vgprPackTemp], v[vgprValuB_X2_I0_D3+0], v[vgprValuB_X2_I0_D2+0], s[sgprPackKForV1] // select K=23 for vector=1
_v_lshl_or_b32 v[vgprValuB_X2_I0+2], v[vgprPackTemp], 0x10, v[vgprValuB_X2_I0+2] // pack two half Vgpr to one Vgpr
v_perm_b32 v[vgprValuB_X2_I0+3], v[vgprValuB_X2_I0_D5+0], v[vgprValuB_X2_I0_D4+0], s[sgprPackKForV1] // select K=45 for vector=1
v_perm_b32 v[vgprPackTemp], v[vgprValuB_X2_I0_D7+0], v[vgprValuB_X2_I0_D6+0], s[sgprPackKForV1] // select K=67 for vector=1
_v_lshl_or_b32 v[vgprValuB_X2_I0+3], v[vgprPackTemp], 0x10, v[vgprValuB_X2_I0+3] // pack two half Vgpr to one Vgpr
v_mfma_f32_16x16x32_bf8_fp8 a[28+0:31+0], v[vgprValuB_X2_I0+0+0+0:vgprValuB_X2_I0+0+0+0+1], v[vgprValuA_X2_I0+14+0+0:vgprValuA_X2_I0+14+0+0+1], a[28:31]
/*  mfmaIndex:136  */
/* pack scheduling: packAIdx:48, packBIdx:12 */
v_perm_b32 v[vgprValuB_X2_I0+4], v[vgprValuB_X2_I0_D1+0], v[vgprValuB_X2_I0_D0+0], s[sgprPackKForV2] // select K=01 for vector=2
v_perm_b32 v[vgprPackTemp], v[vgprValuB_X2_I0_D3+0], v[vgprValuB_X2_I0_D2+0], s[sgprPackKForV2] // select K=23 for vector=2
_v_lshl_or_b32 v[vgprValuB_X2_I0+4], v[vgprPackTemp], 0x10, v[vgprValuB_X2_I0+4] // pack two half Vgpr to one Vgpr
v_perm_b32 v[vgprValuB_X2_I0+5], v[vgprValuB_X2_I0_D5+0], v[vgprValuB_X2_I0_D4+0], s[sgprPackKForV2] // select K=45 for vector=2
v_perm_b32 v[vgprPackTemp], v[vgprValuB_X2_I0_D7+0], v[vgprValuB_X2_I0_D6+0], s[sgprPackKForV2] // select K=67 for vector=2
_v_lshl_or_b32 v[vgprValuB_X2_I0+5], v[vgprPackTemp], 0x10, v[vgprValuB_X2_I0+5] // pack two half Vgpr to one Vgpr
v_mfma_f32_16x16x32_bf8_fp8 a[60+0:63+0], v[vgprValuB_X2_I0+2+0+0:vgprValuB_X2_I0+2+0+0+1], v[vgprValuA_X2_I0+14+0+0:vgprValuA_X2_I0+14+0+0+1], a[60:63]
/*  mfmaIndex:137  */
/* pack scheduling: packAIdx:48, packBIdx:12 */
v_perm_b32 v[vgprValuB_X2_I0+6], v[vgprValuB_X2_I0_D1+0], v[vgprValuB_X2_I0_D0+0], s[sgprPackKForV3] // select K=01 for vector=3
v_perm_b32 v[vgprPackTemp], v[vgprValuB_X2_I0_D3+0], v[vgprValuB_X2_I0_D2+0], s[sgprPackKForV3] // select K=23 for vector=3
_v_lshl_or_b32 v[vgprValuB_X2_I0+6], v[vgprPackTemp], 0x10, v[vgprValuB_X2_I0+6] // pack two half Vgpr to one Vgpr
v_perm_b32 v[vgprValuB_X2_I0+7], v[vgprValuB_X2_I0_D5+0], v[vgprValuB_X2_I0_D4+0], s[sgprPackKForV3] // select K=45 for vector=3
v_perm_b32 v[vgprPackTemp], v[vgprValuB_X2_I0_D7+0], v[vgprValuB_X2_I0_D6+0], s[sgprPackKForV3] // select K=67 for vector=3
_v_lshl_or_b32 v[vgprValuB_X2_I0+7], v[vgprPackTemp], 0x10, v[vgprValuB_X2_I0+7] // pack two half Vgpr to one Vgpr
v_mfma_f32_16x16x32_bf8_fp8 a[56+0:59+0], v[vgprValuB_X2_I0+2+0+0:vgprValuB_X2_I0+2+0+0+1], v[vgprValuA_X2_I0+12+0+0:vgprValuA_X2_I0+12+0+0+1], a[56:59]
/*  mfmaIndex:138  */
/* pack scheduling: packAIdx:48, packBIdx:12 */
v_perm_b32 v[vgprValuB_X2_I0+8], v[vgprValuB_X2_I0_D1+1], v[vgprValuB_X2_I0_D0+1], s[sgprPackKForV0] // select K=01 for vector=0
v_perm_b32 v[vgprPackTemp], v[vgprValuB_X2_I0_D3+1], v[vgprValuB_X2_I0_D2+1], s[sgprPackKForV0] // select K=23 for vector=0
_v_lshl_or_b32 v[vgprValuB_X2_I0+8], v[vgprPackTemp], 0x10, v[vgprValuB_X2_I0+8] // pack two half Vgpr to one Vgpr
v_perm_b32 v[vgprValuB_X2_I0+9], v[vgprValuB_X2_I0_D5+1], v[vgprValuB_X2_I0_D4+1], s[sgprPackKForV0] // select K=45 for vector=0
v_perm_b32 v[vgprPackTemp], v[vgprValuB_X2_I0_D7+1], v[vgprValuB_X2_I0_D6+1], s[sgprPackKForV0] // select K=67 for vector=0
_v_lshl_or_b32 v[vgprValuB_X2_I0+9], v[vgprPackTemp], 0x10, v[vgprValuB_X2_I0+9] // pack two half Vgpr to one Vgpr
v_mfma_f32_16x16x32_bf8_fp8 a[52+0:55+0], v[vgprValuB_X2_I0+2+0+0:vgprValuB_X2_I0+2+0+0+1], v[vgprValuA_X2_I0+10+0+0:vgprValuA_X2_I0+10+0+0+1], a[52:55]
/*  mfmaIndex:139  */
/* sched write - iter 2 writesPerItem=1 */
s_waitcnt vmcnt(0)                                 // lgkmcnt=-1 vmcnt=0wait for global read before writing to local
_ds_store_b128 v[vgprLocalWriteAddrA], v[vgprG2LA+28:vgprG2LA+28+3] offset:7168 // lwoA_0_0_7_0 = (0*LSCA) + (7*LSPA)(*MT0I+PAD) = 7168
/* pack scheduling: packAIdx:48, packBIdx:12 */
v_perm_b32 v[vgprValuB_X2_I0+10], v[vgprValuB_X2_I0_D1+1], v[vgprValuB_X2_I0_D0+1], s[sgprPackKForV1] // select K=01 for vector=1
v_perm_b32 v[vgprPackTemp], v[vgprValuB_X2_I0_D3+1], v[vgprValuB_X2_I0_D2+1], s[sgprPackKForV1] // select K=23 for vector=1
_v_lshl_or_b32 v[vgprValuB_X2_I0+10], v[vgprPackTemp], 0x10, v[vgprValuB_X2_I0+10] // pack two half Vgpr to one Vgpr
v_perm_b32 v[vgprValuB_X2_I0+11], v[vgprValuB_X2_I0_D5+1], v[vgprValuB_X2_I0_D4+1], s[sgprPackKForV1] // select K=45 for vector=1
v_perm_b32 v[vgprPackTemp], v[vgprValuB_X2_I0_D7+1], v[vgprValuB_X2_I0_D6+1], s[sgprPackKForV1] // select K=67 for vector=1
_v_lshl_or_b32 v[vgprValuB_X2_I0+11], v[vgprPackTemp], 0x10, v[vgprValuB_X2_I0+11] // pack two half Vgpr to one Vgpr
v_mfma_f32_16x16x32_bf8_fp8 a[48+0:51+0], v[vgprValuB_X2_I0+2+0+0:vgprValuB_X2_I0+2+0+0+1], v[vgprValuA_X2_I0+8+0+0:vgprValuA_X2_I0+8+0+0+1], a[48:51]
/*  mfmaIndex:140  */
/* pack scheduling: packAIdx:48, packBIdx:12 */
v_perm_b32 v[vgprValuB_X2_I0+12], v[vgprValuB_X2_I0_D1+1], v[vgprValuB_X2_I0_D0+1], s[sgprPackKForV2] // select K=01 for vector=2
v_perm_b32 v[vgprPackTemp], v[vgprValuB_X2_I0_D3+1], v[vgprValuB_X2_I0_D2+1], s[sgprPackKForV2] // select K=23 for vector=2
_v_lshl_or_b32 v[vgprValuB_X2_I0+12], v[vgprPackTemp], 0x10, v[vgprValuB_X2_I0+12] // pack two half Vgpr to one Vgpr
v_perm_b32 v[vgprValuB_X2_I0+13], v[vgprValuB_X2_I0_D5+1], v[vgprValuB_X2_I0_D4+1], s[sgprPackKForV2] // select K=45 for vector=2
v_perm_b32 v[vgprPackTemp], v[vgprValuB_X2_I0_D7+1], v[vgprValuB_X2_I0_D6+1], s[sgprPackKForV2] // select K=67 for vector=2
_v_lshl_or_b32 v[vgprValuB_X2_I0+13], v[vgprPackTemp], 0x10, v[vgprValuB_X2_I0+13] // pack two half Vgpr to one Vgpr
v_mfma_f32_16x16x32_bf8_fp8 a[44+0:47+0], v[vgprValuB_X2_I0+2+0+0:vgprValuB_X2_I0+2+0+0+1], v[vgprValuA_X2_I0+6+0+0:vgprValuA_X2_I0+6+0+0+1], a[44:47]
/*  mfmaIndex:141  */
/* pack scheduling: packAIdx:48, packBIdx:12 */
v_perm_b32 v[vgprValuB_X2_I0+14], v[vgprValuB_X2_I0_D1+1], v[vgprValuB_X2_I0_D0+1], s[sgprPackKForV3] // select K=01 for vector=3
v_perm_b32 v[vgprPackTemp], v[vgprValuB_X2_I0_D3+1], v[vgprValuB_X2_I0_D2+1], s[sgprPackKForV3] // select K=23 for vector=3
_v_lshl_or_b32 v[vgprValuB_X2_I0+14], v[vgprPackTemp], 0x10, v[vgprValuB_X2_I0+14] // pack two half Vgpr to one Vgpr
v_perm_b32 v[vgprValuB_X2_I0+15], v[vgprValuB_X2_I0_D5+1], v[vgprValuB_X2_I0_D4+1], s[sgprPackKForV3] // select K=45 for vector=3
v_perm_b32 v[vgprPackTemp], v[vgprValuB_X2_I0_D7+1], v[vgprValuB_X2_I0_D6+1], s[sgprPackKForV3] // select K=67 for vector=3
_v_lshl_or_b32 v[vgprValuB_X2_I0+15], v[vgprPackTemp], 0x10, v[vgprValuB_X2_I0+15] // pack two half Vgpr to one Vgpr
v_mfma_f32_16x16x32_bf8_fp8 a[40+0:43+0], v[vgprValuB_X2_I0+2+0+0:vgprValuB_X2_I0+2+0+0+1], v[vgprValuA_X2_I0+4+0+0:vgprValuA_X2_I0+4+0+0+1], a[40:43]
/*  mfmaIndex:142  */
v_mfma_f32_16x16x32_bf8_fp8 a[36+0:39+0], v[vgprValuB_X2_I0+2+0+0:vgprValuB_X2_I0+2+0+0+1], v[vgprValuA_X2_I0+2+0+0:vgprValuA_X2_I0+2+0+0+1], a[36:39]
/*  mfmaIndex:143  */
	;; [unrolled: 2-line block ×9, first 2 shown]
/* sched write - iter 2 writesPerItem=1 */
s_waitcnt vmcnt(0)                                 // lgkmcnt=-1 vmcnt=0wait for global read before writing to local
_ds_store_b128 v[vgprLocalWriteAddrB], v[vgprG2LB+0:vgprG2LB+0+3] offset:0 // lwoB_0_0_0_0 = (0*LSCB) + (0*LSPB)(*MT1J+PAD) = 0
v_mfma_f32_16x16x32_bf8_fp8 a[88+0:91+0], v[vgprValuB_X2_I0+4+0+0:vgprValuB_X2_I0+4+0+0+1], v[vgprValuA_X2_I0+12+0+0:vgprValuA_X2_I0+12+0+0+1], a[88:91]
/*  mfmaIndex:151  */
v_mfma_f32_16x16x32_bf8_fp8 a[92+0:95+0], v[vgprValuB_X2_I0+4+0+0:vgprValuB_X2_I0+4+0+0+1], v[vgprValuA_X2_I0+14+0+0:vgprValuA_X2_I0+14+0+0+1], a[92:95]
/*  mfmaIndex:152  */
	;; [unrolled: 2-line block ×12, first 2 shown]
/* sched write - iter 2 writesPerItem=1 */
s_waitcnt vmcnt(0)                                 // lgkmcnt=-1 vmcnt=0wait for global read before writing to local
_ds_store_b128 v[vgprLocalWriteAddrB], v[vgprG2LB+4:vgprG2LB+4+3] offset:1024 // lwoB_0_0_1_0 = (0*LSCB) + (1*LSPB)(*MT1J+PAD) = 1024
v_mfma_f32_16x16x32_bf8_fp8 a[136+0:139+0], v[vgprValuB_X2_I0+8+0+0:vgprValuB_X2_I0+8+0+0+1], v[vgprValuA_X2_I0+4+0+0:vgprValuA_X2_I0+4+0+0+1], a[136:139]
/*  mfmaIndex:163  */
v_mfma_f32_16x16x32_bf8_fp8 a[140+0:143+0], v[vgprValuB_X2_I0+8+0+0:vgprValuB_X2_I0+8+0+0+1], v[vgprValuA_X2_I0+6+0+0:vgprValuA_X2_I0+6+0+0+1], a[140:143]
/*  mfmaIndex:164  */
	;; [unrolled: 2-line block ×11, first 2 shown]
/* sched write - iter 2 writesPerItem=1 */
s_waitcnt vmcnt(0)                                 // lgkmcnt=-1 vmcnt=0wait for global read before writing to local
_ds_store_b128 v[vgprLocalWriteAddrB], v[vgprG2LB+8:vgprG2LB+8+3] offset:2048 // lwoB_0_0_2_0 = (0*LSCB) + (2*LSPB)(*MT1J+PAD) = 2048
v_mfma_f32_16x16x32_bf8_fp8 a[168+0:171+0], v[vgprValuB_X2_I0+10+0+0:vgprValuB_X2_I0+10+0+0+1], v[vgprValuA_X2_I0+4+0+0:vgprValuA_X2_I0+4+0+0+1], a[168:171]
/*  mfmaIndex:174  */
v_mfma_f32_16x16x32_bf8_fp8 a[164+0:167+0], v[vgprValuB_X2_I0+10+0+0:vgprValuB_X2_I0+10+0+0+1], v[vgprValuA_X2_I0+2+0+0:vgprValuA_X2_I0+2+0+0+1], a[164:167]
/*  mfmaIndex:175  */
	;; [unrolled: 2-line block ×11, first 2 shown]
/* sched write - iter 2 writesPerItem=1 */
s_waitcnt vmcnt(0)                                 // lgkmcnt=-1 vmcnt=0wait for global read before writing to local
_ds_store_b128 v[vgprLocalWriteAddrB], v[vgprG2LB+12:vgprG2LB+12+3] offset:3072 // lwoB_0_0_3_0 = (0*LSCB) + (3*LSPB)(*MT1J+PAD) = 3072
v_mfma_f32_16x16x32_bf8_fp8 a[252+0:255+0], v[vgprValuB_X2_I0+14+0+0:vgprValuB_X2_I0+14+0+0+1], v[vgprValuA_X2_I0+14+0+0:vgprValuA_X2_I0+14+0+0+1], a[252:255]
/*  mfmaIndex:185  */
v_mfma_f32_16x16x32_bf8_fp8 a[248+0:251+0], v[vgprValuB_X2_I0+14+0+0:vgprValuB_X2_I0+14+0+0+1], v[vgprValuA_X2_I0+12+0+0:vgprValuA_X2_I0+12+0+0+1], a[248:251]
/*  mfmaIndex:186  */
	;; [unrolled: 2-line block ×7, first 2 shown]

/* local read swap offsets a */

/* local read swap offsets b */

/* local read init pointers a */

/* localReadInitPointers */

/* local read init pointers b */

/* localReadInitPointers */
v_mfma_f32_16x16x32_bf8_fp8 a[224+0:227+0], v[vgprValuB_X2_I0+14+0+0:vgprValuB_X2_I0+14+0+0+1], v[vgprValuA_X2_I0+0+0+0:vgprValuA_X2_I0+0+0+0+1], a[224:227]


/* iter 3 (swap and reset local write pointers iteration)  */

/*  grEndMfmaIndex:12, lwStartMfmaIndex:62, lwEndMfmaIndex:229  */
/*  numMfmaForLR:21, barrierMfmaIndex:234, LocalWritePerMfma:0.090 */
/*  mfmaIndex:192  */
/* pack scheduling: packAIdx:6, packBIdx:6 */
v_perm_b32 v[vgprValuA_X3_I0+0], v[vgprValuA_X3_I0_D1+0], v[vgprValuA_X3_I0_D0+0], s[sgprPackKForV0] // select K=01 for vector=0
v_perm_b32 v[vgprPackTemp], v[vgprValuA_X3_I0_D3+0], v[vgprValuA_X3_I0_D2+0], s[sgprPackKForV0] // select K=23 for vector=0
_v_lshl_or_b32 v[vgprValuA_X3_I0+0], v[vgprPackTemp], 0x10, v[vgprValuA_X3_I0+0] // pack two half Vgpr to one Vgpr
v_perm_b32 v[vgprValuA_X3_I0+1], v[vgprValuA_X3_I0_D5+0], v[vgprValuA_X3_I0_D4+0], s[sgprPackKForV0] // select K=45 for vector=0
v_perm_b32 v[vgprPackTemp], v[vgprValuA_X3_I0_D7+0], v[vgprValuA_X3_I0_D6+0], s[sgprPackKForV0] // select K=67 for vector=0
_v_lshl_or_b32 v[vgprValuA_X3_I0+1], v[vgprPackTemp], 0x10, v[vgprValuA_X3_I0+1] // pack two half Vgpr to one Vgpr
v_perm_b32 v[vgprValuB_X3_I0+0], v[vgprValuB_X3_I0_D1+0], v[vgprValuB_X3_I0_D0+0], s[sgprPackKForV0] // select K=01 for vector=0
v_perm_b32 v[vgprPackTemp], v[vgprValuB_X3_I0_D3+0], v[vgprValuB_X3_I0_D2+0], s[sgprPackKForV0] // select K=23 for vector=0
_v_lshl_or_b32 v[vgprValuB_X3_I0+0], v[vgprPackTemp], 0x10, v[vgprValuB_X3_I0+0] // pack two half Vgpr to one Vgpr
v_perm_b32 v[vgprValuB_X3_I0+1], v[vgprValuB_X3_I0_D5+0], v[vgprValuB_X3_I0_D4+0], s[sgprPackKForV0] // select K=45 for vector=0
v_perm_b32 v[vgprPackTemp], v[vgprValuB_X3_I0_D7+0], v[vgprValuB_X3_I0_D6+0], s[sgprPackKForV0] // select K=67 for vector=0
_v_lshl_or_b32 v[vgprValuB_X3_I0+1], v[vgprPackTemp], 0x10, v[vgprValuB_X3_I0+1] // pack two half Vgpr to one Vgpr
v_perm_b32 v[vgprValuA_X3_I0+2], v[vgprValuA_X3_I0_D1+0], v[vgprValuA_X3_I0_D0+0], s[sgprPackKForV1] // select K=01 for vector=1
v_perm_b32 v[vgprPackTemp], v[vgprValuA_X3_I0_D3+0], v[vgprValuA_X3_I0_D2+0], s[sgprPackKForV1] // select K=23 for vector=1
_v_lshl_or_b32 v[vgprValuA_X3_I0+2], v[vgprPackTemp], 0x10, v[vgprValuA_X3_I0+2] // pack two half Vgpr to one Vgpr
v_perm_b32 v[vgprValuA_X3_I0+3], v[vgprValuA_X3_I0_D5+0], v[vgprValuA_X3_I0_D4+0], s[sgprPackKForV1] // select K=45 for vector=1
v_perm_b32 v[vgprPackTemp], v[vgprValuA_X3_I0_D7+0], v[vgprValuA_X3_I0_D6+0], s[sgprPackKForV1] // select K=67 for vector=1
_v_lshl_or_b32 v[vgprValuA_X3_I0+3], v[vgprPackTemp], 0x10, v[vgprValuA_X3_I0+3] // pack two half Vgpr to one Vgpr
v_mfma_f32_16x16x32_bf8_fp8 a[0+0:3+0], v[vgprValuB_X3_I0+0+0+0:vgprValuB_X3_I0+0+0+0+1], v[vgprValuA_X3_I0+0+0+0:vgprValuA_X3_I0+0+0+0+1], a[0:3]
/*  mfmaIndex:193  */
/* pack scheduling: packAIdx:12, packBIdx:6 */
v_perm_b32 v[vgprValuA_X3_I0+4], v[vgprValuA_X3_I0_D1+0], v[vgprValuA_X3_I0_D0+0], s[sgprPackKForV2] // select K=01 for vector=2
v_perm_b32 v[vgprPackTemp], v[vgprValuA_X3_I0_D3+0], v[vgprValuA_X3_I0_D2+0], s[sgprPackKForV2] // select K=23 for vector=2
_v_lshl_or_b32 v[vgprValuA_X3_I0+4], v[vgprPackTemp], 0x10, v[vgprValuA_X3_I0+4] // pack two half Vgpr to one Vgpr
v_perm_b32 v[vgprValuA_X3_I0+5], v[vgprValuA_X3_I0_D5+0], v[vgprValuA_X3_I0_D4+0], s[sgprPackKForV2] // select K=45 for vector=2
v_perm_b32 v[vgprPackTemp], v[vgprValuA_X3_I0_D7+0], v[vgprValuA_X3_I0_D6+0], s[sgprPackKForV2] // select K=67 for vector=2
_v_lshl_or_b32 v[vgprValuA_X3_I0+5], v[vgprPackTemp], 0x10, v[vgprValuA_X3_I0+5] // pack two half Vgpr to one Vgpr
v_mfma_f32_16x16x32_bf8_fp8 a[4+0:7+0], v[vgprValuB_X3_I0+0+0+0:vgprValuB_X3_I0+0+0+0+1], v[vgprValuA_X3_I0+2+0+0:vgprValuA_X3_I0+2+0+0+1], a[4:7]
/*  mfmaIndex:194  */
/* pack scheduling: packAIdx:18, packBIdx:6 */
v_perm_b32 v[vgprValuA_X3_I0+6], v[vgprValuA_X3_I0_D1+0], v[vgprValuA_X3_I0_D0+0], s[sgprPackKForV3] // select K=01 for vector=3
v_perm_b32 v[vgprPackTemp], v[vgprValuA_X3_I0_D3+0], v[vgprValuA_X3_I0_D2+0], s[sgprPackKForV3] // select K=23 for vector=3
_v_lshl_or_b32 v[vgprValuA_X3_I0+6], v[vgprPackTemp], 0x10, v[vgprValuA_X3_I0+6] // pack two half Vgpr to one Vgpr
v_perm_b32 v[vgprValuA_X3_I0+7], v[vgprValuA_X3_I0_D5+0], v[vgprValuA_X3_I0_D4+0], s[sgprPackKForV3] // select K=45 for vector=3
v_perm_b32 v[vgprPackTemp], v[vgprValuA_X3_I0_D7+0], v[vgprValuA_X3_I0_D6+0], s[sgprPackKForV3] // select K=67 for vector=3
_v_lshl_or_b32 v[vgprValuA_X3_I0+7], v[vgprPackTemp], 0x10, v[vgprValuA_X3_I0+7] // pack two half Vgpr to one Vgpr
v_mfma_f32_16x16x32_bf8_fp8 a[8+0:11+0], v[vgprValuB_X3_I0+0+0+0:vgprValuB_X3_I0+0+0+0+1], v[vgprValuA_X3_I0+4+0+0:vgprValuA_X3_I0+4+0+0+1], a[8:11]
/*  mfmaIndex:195  */
/* sched write - iter 3 writesPerItem=1 */
s_waitcnt vmcnt(0)                                 // lgkmcnt=-1 vmcnt=0wait for global read before writing to local
_ds_store_b128 v[vgprLocalWriteAddrB], v[vgprG2LB+16:vgprG2LB+16+3] offset:4096 // lwoB_0_0_4_0 = (0*LSCB) + (4*LSPB)(*MT1J+PAD) = 4096
/* pack scheduling: packAIdx:24, packBIdx:6 */
v_perm_b32 v[vgprValuA_X3_I0+8], v[vgprValuA_X3_I0_D1+1], v[vgprValuA_X3_I0_D0+1], s[sgprPackKForV0] // select K=01 for vector=0
v_perm_b32 v[vgprPackTemp], v[vgprValuA_X3_I0_D3+1], v[vgprValuA_X3_I0_D2+1], s[sgprPackKForV0] // select K=23 for vector=0
_v_lshl_or_b32 v[vgprValuA_X3_I0+8], v[vgprPackTemp], 0x10, v[vgprValuA_X3_I0+8] // pack two half Vgpr to one Vgpr
v_perm_b32 v[vgprValuA_X3_I0+9], v[vgprValuA_X3_I0_D5+1], v[vgprValuA_X3_I0_D4+1], s[sgprPackKForV0] // select K=45 for vector=0
v_perm_b32 v[vgprPackTemp], v[vgprValuA_X3_I0_D7+1], v[vgprValuA_X3_I0_D6+1], s[sgprPackKForV0] // select K=67 for vector=0
_v_lshl_or_b32 v[vgprValuA_X3_I0+9], v[vgprPackTemp], 0x10, v[vgprValuA_X3_I0+9] // pack two half Vgpr to one Vgpr
v_mfma_f32_16x16x32_bf8_fp8 a[12+0:15+0], v[vgprValuB_X3_I0+0+0+0:vgprValuB_X3_I0+0+0+0+1], v[vgprValuA_X3_I0+6+0+0:vgprValuA_X3_I0+6+0+0+1], a[12:15]
/*  mfmaIndex:196  */
/* pack scheduling: packAIdx:30, packBIdx:6 */
v_perm_b32 v[vgprValuA_X3_I0+10], v[vgprValuA_X3_I0_D1+1], v[vgprValuA_X3_I0_D0+1], s[sgprPackKForV1] // select K=01 for vector=1
v_perm_b32 v[vgprPackTemp], v[vgprValuA_X3_I0_D3+1], v[vgprValuA_X3_I0_D2+1], s[sgprPackKForV1] // select K=23 for vector=1
_v_lshl_or_b32 v[vgprValuA_X3_I0+10], v[vgprPackTemp], 0x10, v[vgprValuA_X3_I0+10] // pack two half Vgpr to one Vgpr
v_perm_b32 v[vgprValuA_X3_I0+11], v[vgprValuA_X3_I0_D5+1], v[vgprValuA_X3_I0_D4+1], s[sgprPackKForV1] // select K=45 for vector=1
v_perm_b32 v[vgprPackTemp], v[vgprValuA_X3_I0_D7+1], v[vgprValuA_X3_I0_D6+1], s[sgprPackKForV1] // select K=67 for vector=1
_v_lshl_or_b32 v[vgprValuA_X3_I0+11], v[vgprPackTemp], 0x10, v[vgprValuA_X3_I0+11] // pack two half Vgpr to one Vgpr
v_mfma_f32_16x16x32_bf8_fp8 a[16+0:19+0], v[vgprValuB_X3_I0+0+0+0:vgprValuB_X3_I0+0+0+0+1], v[vgprValuA_X3_I0+8+0+0:vgprValuA_X3_I0+8+0+0+1], a[16:19]
/*  mfmaIndex:197  */
/* pack scheduling: packAIdx:36, packBIdx:6 */
v_perm_b32 v[vgprValuA_X3_I0+12], v[vgprValuA_X3_I0_D1+1], v[vgprValuA_X3_I0_D0+1], s[sgprPackKForV2] // select K=01 for vector=2
v_perm_b32 v[vgprPackTemp], v[vgprValuA_X3_I0_D3+1], v[vgprValuA_X3_I0_D2+1], s[sgprPackKForV2] // select K=23 for vector=2
_v_lshl_or_b32 v[vgprValuA_X3_I0+12], v[vgprPackTemp], 0x10, v[vgprValuA_X3_I0+12] // pack two half Vgpr to one Vgpr
v_perm_b32 v[vgprValuA_X3_I0+13], v[vgprValuA_X3_I0_D5+1], v[vgprValuA_X3_I0_D4+1], s[sgprPackKForV2] // select K=45 for vector=2
v_perm_b32 v[vgprPackTemp], v[vgprValuA_X3_I0_D7+1], v[vgprValuA_X3_I0_D6+1], s[sgprPackKForV2] // select K=67 for vector=2
_v_lshl_or_b32 v[vgprValuA_X3_I0+13], v[vgprPackTemp], 0x10, v[vgprValuA_X3_I0+13] // pack two half Vgpr to one Vgpr
v_mfma_f32_16x16x32_bf8_fp8 a[20+0:23+0], v[vgprValuB_X3_I0+0+0+0:vgprValuB_X3_I0+0+0+0+1], v[vgprValuA_X3_I0+10+0+0:vgprValuA_X3_I0+10+0+0+1], a[20:23]
/*  mfmaIndex:198  */
/* pack scheduling: packAIdx:42, packBIdx:6 */
v_perm_b32 v[vgprValuA_X3_I0+14], v[vgprValuA_X3_I0_D1+1], v[vgprValuA_X3_I0_D0+1], s[sgprPackKForV3] // select K=01 for vector=3
v_perm_b32 v[vgprPackTemp], v[vgprValuA_X3_I0_D3+1], v[vgprValuA_X3_I0_D2+1], s[sgprPackKForV3] // select K=23 for vector=3
_v_lshl_or_b32 v[vgprValuA_X3_I0+14], v[vgprPackTemp], 0x10, v[vgprValuA_X3_I0+14] // pack two half Vgpr to one Vgpr
v_perm_b32 v[vgprValuA_X3_I0+15], v[vgprValuA_X3_I0_D5+1], v[vgprValuA_X3_I0_D4+1], s[sgprPackKForV3] // select K=45 for vector=3
v_perm_b32 v[vgprPackTemp], v[vgprValuA_X3_I0_D7+1], v[vgprValuA_X3_I0_D6+1], s[sgprPackKForV3] // select K=67 for vector=3
_v_lshl_or_b32 v[vgprValuA_X3_I0+15], v[vgprPackTemp], 0x10, v[vgprValuA_X3_I0+15] // pack two half Vgpr to one Vgpr
v_mfma_f32_16x16x32_bf8_fp8 a[24+0:27+0], v[vgprValuB_X3_I0+0+0+0:vgprValuB_X3_I0+0+0+0+1], v[vgprValuA_X3_I0+12+0+0:vgprValuA_X3_I0+12+0+0+1], a[24:27]
/*  mfmaIndex:199  */
/* pack scheduling: packAIdx:48, packBIdx:6 */
v_perm_b32 v[vgprValuB_X3_I0+2], v[vgprValuB_X3_I0_D1+0], v[vgprValuB_X3_I0_D0+0], s[sgprPackKForV1] // select K=01 for vector=1
v_perm_b32 v[vgprPackTemp], v[vgprValuB_X3_I0_D3+0], v[vgprValuB_X3_I0_D2+0], s[sgprPackKForV1] // select K=23 for vector=1
_v_lshl_or_b32 v[vgprValuB_X3_I0+2], v[vgprPackTemp], 0x10, v[vgprValuB_X3_I0+2] // pack two half Vgpr to one Vgpr
v_perm_b32 v[vgprValuB_X3_I0+3], v[vgprValuB_X3_I0_D5+0], v[vgprValuB_X3_I0_D4+0], s[sgprPackKForV1] // select K=45 for vector=1
v_perm_b32 v[vgprPackTemp], v[vgprValuB_X3_I0_D7+0], v[vgprValuB_X3_I0_D6+0], s[sgprPackKForV1] // select K=67 for vector=1
_v_lshl_or_b32 v[vgprValuB_X3_I0+3], v[vgprPackTemp], 0x10, v[vgprValuB_X3_I0+3] // pack two half Vgpr to one Vgpr
v_mfma_f32_16x16x32_bf8_fp8 a[28+0:31+0], v[vgprValuB_X3_I0+0+0+0:vgprValuB_X3_I0+0+0+0+1], v[vgprValuA_X3_I0+14+0+0:vgprValuA_X3_I0+14+0+0+1], a[28:31]
/*  mfmaIndex:200  */
/* pack scheduling: packAIdx:48, packBIdx:12 */
v_perm_b32 v[vgprValuB_X3_I0+4], v[vgprValuB_X3_I0_D1+0], v[vgprValuB_X3_I0_D0+0], s[sgprPackKForV2] // select K=01 for vector=2
v_perm_b32 v[vgprPackTemp], v[vgprValuB_X3_I0_D3+0], v[vgprValuB_X3_I0_D2+0], s[sgprPackKForV2] // select K=23 for vector=2
_v_lshl_or_b32 v[vgprValuB_X3_I0+4], v[vgprPackTemp], 0x10, v[vgprValuB_X3_I0+4] // pack two half Vgpr to one Vgpr
v_perm_b32 v[vgprValuB_X3_I0+5], v[vgprValuB_X3_I0_D5+0], v[vgprValuB_X3_I0_D4+0], s[sgprPackKForV2] // select K=45 for vector=2
v_perm_b32 v[vgprPackTemp], v[vgprValuB_X3_I0_D7+0], v[vgprValuB_X3_I0_D6+0], s[sgprPackKForV2] // select K=67 for vector=2
_v_lshl_or_b32 v[vgprValuB_X3_I0+5], v[vgprPackTemp], 0x10, v[vgprValuB_X3_I0+5] // pack two half Vgpr to one Vgpr
v_mfma_f32_16x16x32_bf8_fp8 a[60+0:63+0], v[vgprValuB_X3_I0+2+0+0:vgprValuB_X3_I0+2+0+0+1], v[vgprValuA_X3_I0+14+0+0:vgprValuA_X3_I0+14+0+0+1], a[60:63]
/*  mfmaIndex:201  */
/* pack scheduling: packAIdx:48, packBIdx:12 */
v_perm_b32 v[vgprValuB_X3_I0+6], v[vgprValuB_X3_I0_D1+0], v[vgprValuB_X3_I0_D0+0], s[sgprPackKForV3] // select K=01 for vector=3
v_perm_b32 v[vgprPackTemp], v[vgprValuB_X3_I0_D3+0], v[vgprValuB_X3_I0_D2+0], s[sgprPackKForV3] // select K=23 for vector=3
_v_lshl_or_b32 v[vgprValuB_X3_I0+6], v[vgprPackTemp], 0x10, v[vgprValuB_X3_I0+6] // pack two half Vgpr to one Vgpr
v_perm_b32 v[vgprValuB_X3_I0+7], v[vgprValuB_X3_I0_D5+0], v[vgprValuB_X3_I0_D4+0], s[sgprPackKForV3] // select K=45 for vector=3
v_perm_b32 v[vgprPackTemp], v[vgprValuB_X3_I0_D7+0], v[vgprValuB_X3_I0_D6+0], s[sgprPackKForV3] // select K=67 for vector=3
_v_lshl_or_b32 v[vgprValuB_X3_I0+7], v[vgprPackTemp], 0x10, v[vgprValuB_X3_I0+7] // pack two half Vgpr to one Vgpr
v_mfma_f32_16x16x32_bf8_fp8 a[56+0:59+0], v[vgprValuB_X3_I0+2+0+0:vgprValuB_X3_I0+2+0+0+1], v[vgprValuA_X3_I0+12+0+0:vgprValuA_X3_I0+12+0+0+1], a[56:59]
/*  mfmaIndex:202  */
/* pack scheduling: packAIdx:48, packBIdx:12 */
v_perm_b32 v[vgprValuB_X3_I0+8], v[vgprValuB_X3_I0_D1+1], v[vgprValuB_X3_I0_D0+1], s[sgprPackKForV0] // select K=01 for vector=0
v_perm_b32 v[vgprPackTemp], v[vgprValuB_X3_I0_D3+1], v[vgprValuB_X3_I0_D2+1], s[sgprPackKForV0] // select K=23 for vector=0
_v_lshl_or_b32 v[vgprValuB_X3_I0+8], v[vgprPackTemp], 0x10, v[vgprValuB_X3_I0+8] // pack two half Vgpr to one Vgpr
v_perm_b32 v[vgprValuB_X3_I0+9], v[vgprValuB_X3_I0_D5+1], v[vgprValuB_X3_I0_D4+1], s[sgprPackKForV0] // select K=45 for vector=0
v_perm_b32 v[vgprPackTemp], v[vgprValuB_X3_I0_D7+1], v[vgprValuB_X3_I0_D6+1], s[sgprPackKForV0] // select K=67 for vector=0
_v_lshl_or_b32 v[vgprValuB_X3_I0+9], v[vgprPackTemp], 0x10, v[vgprValuB_X3_I0+9] // pack two half Vgpr to one Vgpr
v_mfma_f32_16x16x32_bf8_fp8 a[52+0:55+0], v[vgprValuB_X3_I0+2+0+0:vgprValuB_X3_I0+2+0+0+1], v[vgprValuA_X3_I0+10+0+0:vgprValuA_X3_I0+10+0+0+1], a[52:55]
/*  mfmaIndex:203  */
/* pack scheduling: packAIdx:48, packBIdx:12 */
v_perm_b32 v[vgprValuB_X3_I0+10], v[vgprValuB_X3_I0_D1+1], v[vgprValuB_X3_I0_D0+1], s[sgprPackKForV1] // select K=01 for vector=1
v_perm_b32 v[vgprPackTemp], v[vgprValuB_X3_I0_D3+1], v[vgprValuB_X3_I0_D2+1], s[sgprPackKForV1] // select K=23 for vector=1
_v_lshl_or_b32 v[vgprValuB_X3_I0+10], v[vgprPackTemp], 0x10, v[vgprValuB_X3_I0+10] // pack two half Vgpr to one Vgpr
v_perm_b32 v[vgprValuB_X3_I0+11], v[vgprValuB_X3_I0_D5+1], v[vgprValuB_X3_I0_D4+1], s[sgprPackKForV1] // select K=45 for vector=1
v_perm_b32 v[vgprPackTemp], v[vgprValuB_X3_I0_D7+1], v[vgprValuB_X3_I0_D6+1], s[sgprPackKForV1] // select K=67 for vector=1
_v_lshl_or_b32 v[vgprValuB_X3_I0+11], v[vgprPackTemp], 0x10, v[vgprValuB_X3_I0+11] // pack two half Vgpr to one Vgpr
v_mfma_f32_16x16x32_bf8_fp8 a[48+0:51+0], v[vgprValuB_X3_I0+2+0+0:vgprValuB_X3_I0+2+0+0+1], v[vgprValuA_X3_I0+8+0+0:vgprValuA_X3_I0+8+0+0+1], a[48:51]
/*  mfmaIndex:204  */
/* pack scheduling: packAIdx:48, packBIdx:12 */
v_perm_b32 v[vgprValuB_X3_I0+12], v[vgprValuB_X3_I0_D1+1], v[vgprValuB_X3_I0_D0+1], s[sgprPackKForV2] // select K=01 for vector=2
v_perm_b32 v[vgprPackTemp], v[vgprValuB_X3_I0_D3+1], v[vgprValuB_X3_I0_D2+1], s[sgprPackKForV2] // select K=23 for vector=2
_v_lshl_or_b32 v[vgprValuB_X3_I0+12], v[vgprPackTemp], 0x10, v[vgprValuB_X3_I0+12] // pack two half Vgpr to one Vgpr
v_perm_b32 v[vgprValuB_X3_I0+13], v[vgprValuB_X3_I0_D5+1], v[vgprValuB_X3_I0_D4+1], s[sgprPackKForV2] // select K=45 for vector=2
v_perm_b32 v[vgprPackTemp], v[vgprValuB_X3_I0_D7+1], v[vgprValuB_X3_I0_D6+1], s[sgprPackKForV2] // select K=67 for vector=2
_v_lshl_or_b32 v[vgprValuB_X3_I0+13], v[vgprPackTemp], 0x10, v[vgprValuB_X3_I0+13] // pack two half Vgpr to one Vgpr
v_mfma_f32_16x16x32_bf8_fp8 a[44+0:47+0], v[vgprValuB_X3_I0+2+0+0:vgprValuB_X3_I0+2+0+0+1], v[vgprValuA_X3_I0+6+0+0:vgprValuA_X3_I0+6+0+0+1], a[44:47]
/*  mfmaIndex:205  */
/* pack scheduling: packAIdx:48, packBIdx:12 */
v_perm_b32 v[vgprValuB_X3_I0+14], v[vgprValuB_X3_I0_D1+1], v[vgprValuB_X3_I0_D0+1], s[sgprPackKForV3] // select K=01 for vector=3
v_perm_b32 v[vgprPackTemp], v[vgprValuB_X3_I0_D3+1], v[vgprValuB_X3_I0_D2+1], s[sgprPackKForV3] // select K=23 for vector=3
_v_lshl_or_b32 v[vgprValuB_X3_I0+14], v[vgprPackTemp], 0x10, v[vgprValuB_X3_I0+14] // pack two half Vgpr to one Vgpr
v_perm_b32 v[vgprValuB_X3_I0+15], v[vgprValuB_X3_I0_D5+1], v[vgprValuB_X3_I0_D4+1], s[sgprPackKForV3] // select K=45 for vector=3
v_perm_b32 v[vgprPackTemp], v[vgprValuB_X3_I0_D7+1], v[vgprValuB_X3_I0_D6+1], s[sgprPackKForV3] // select K=67 for vector=3
_v_lshl_or_b32 v[vgprValuB_X3_I0+15], v[vgprPackTemp], 0x10, v[vgprValuB_X3_I0+15] // pack two half Vgpr to one Vgpr
v_mfma_f32_16x16x32_bf8_fp8 a[40+0:43+0], v[vgprValuB_X3_I0+2+0+0:vgprValuB_X3_I0+2+0+0+1], v[vgprValuA_X3_I0+4+0+0:vgprValuA_X3_I0+4+0+0+1], a[40:43]
/*  mfmaIndex:206  */
/* sched write - iter 3 writesPerItem=1 */
s_waitcnt vmcnt(0)                                 // lgkmcnt=-1 vmcnt=0wait for global read before writing to local
_ds_store_b128 v[vgprLocalWriteAddrB], v[vgprG2LB+20:vgprG2LB+20+3] offset:5120 // lwoB_0_0_5_0 = (0*LSCB) + (5*LSPB)(*MT1J+PAD) = 5120
v_mfma_f32_16x16x32_bf8_fp8 a[36+0:39+0], v[vgprValuB_X3_I0+2+0+0:vgprValuB_X3_I0+2+0+0+1], v[vgprValuA_X3_I0+2+0+0:vgprValuA_X3_I0+2+0+0+1], a[36:39]
/*  mfmaIndex:207  */
v_mfma_f32_16x16x32_bf8_fp8 a[32+0:35+0], v[vgprValuB_X3_I0+2+0+0:vgprValuB_X3_I0+2+0+0+1], v[vgprValuA_X3_I0+0+0+0:vgprValuA_X3_I0+0+0+0+1], a[32:35]
/*  mfmaIndex:208  */
	;; [unrolled: 2-line block ×11, first 2 shown]
/* sched write - iter 3 writesPerItem=1 */
s_waitcnt vmcnt(0)                                 // lgkmcnt=-1 vmcnt=0wait for global read before writing to local
_ds_store_b128 v[vgprLocalWriteAddrB], v[vgprG2LB+24:vgprG2LB+24+3] offset:6144 // lwoB_0_0_6_0 = (0*LSCB) + (6*LSPB)(*MT1J+PAD) = 6144
v_mfma_f32_16x16x32_bf8_fp8 a[120+0:123+0], v[vgprValuB_X3_I0+6+0+0:vgprValuB_X3_I0+6+0+0+1], v[vgprValuA_X3_I0+12+0+0:vgprValuA_X3_I0+12+0+0+1], a[120:123]
/*  mfmaIndex:218  */
v_mfma_f32_16x16x32_bf8_fp8 a[116+0:119+0], v[vgprValuB_X3_I0+6+0+0:vgprValuB_X3_I0+6+0+0+1], v[vgprValuA_X3_I0+10+0+0:vgprValuA_X3_I0+10+0+0+1], a[116:119]
/*  mfmaIndex:219  */
	;; [unrolled: 2-line block ×11, first 2 shown]
/* sched write - iter 3 writesPerItem=1 */
s_waitcnt vmcnt(0)                                 // lgkmcnt=-1 vmcnt=0wait for global read before writing to local
_ds_store_b128 v[vgprLocalWriteAddrB], v[vgprG2LB+28:vgprG2LB+28+3] offset:7168 // lwoB_0_0_7_0 = (0*LSCB) + (7*LSPB)(*MT1J+PAD) = 7168
v_mfma_f32_16x16x32_bf8_fp8 a[144+0:147+0], v[vgprValuB_X3_I0+8+0+0:vgprValuB_X3_I0+8+0+0+1], v[vgprValuA_X3_I0+8+0+0:vgprValuA_X3_I0+8+0+0+1], a[144:147]
/*  mfmaIndex:229  */

/* local write swap offsets a */

/* local write swap offsets b */
v_mfma_f32_16x16x32_bf8_fp8 a[148+0:151+0], v[vgprValuB_X3_I0+8+0+0:vgprValuB_X3_I0+8+0+0+1], v[vgprValuA_X3_I0+10+0+0:vgprValuA_X3_I0+10+0+0+1], a[148:151]
/*  mfmaIndex:230  */
v_mfma_f32_16x16x32_bf8_fp8 a[152+0:155+0], v[vgprValuB_X3_I0+8+0+0:vgprValuB_X3_I0+8+0+0+1], v[vgprValuA_X3_I0+12+0+0:vgprValuA_X3_I0+12+0+0+1], a[152:155]
/*  mfmaIndex:231  */
	;; [unrolled: 2-line block ×4, first 2 shown]
v_mfma_f32_16x16x32_bf8_fp8 a[184+0:187+0], v[vgprValuB_X3_I0+10+0+0:vgprValuB_X3_I0+10+0+0+1], v[vgprValuA_X3_I0+12+0+0:vgprValuA_X3_I0+12+0+0+1], a[184:187]
s_setprio 0                                        // store optimization
/*  mfmaIndex:234  */
s_waitcnt lgkmcnt(0)                               // lgkmcnt=0 vmcnt=-13wait for local write
// Skip force waitcnt0
s_barrier //
v_mfma_f32_16x16x32_bf8_fp8 a[180+0:183+0], v[vgprValuB_X3_I0+10+0+0:vgprValuB_X3_I0+10+0+0+1], v[vgprValuA_X3_I0+10+0+0:vgprValuA_X3_I0+10+0+0+1], a[180:183]
/*  mfmaIndex:235  */
s_setprio 3                                        // store optimization
_ds_load_b64 v[vgprValuA_X0_I0_D0+0:vgprValuA_X0_I0_D0+0+1], v[vgprLocalReadAddrA] offset:0 // L -> Reg lro=0 swapByteOffset=0 ti=256 vIdx=0 rIdx=0 oIdx=0 buffer=0 iui=0
v_mfma_f32_16x16x32_bf8_fp8 a[176+0:179+0], v[vgprValuB_X3_I0+10+0+0:vgprValuB_X3_I0+10+0+0+1], v[vgprValuA_X3_I0+8+0+0:vgprValuA_X3_I0+8+0+0+1], a[176:179]
/*  mfmaIndex:236  */
_ds_load_b64 v[vgprValuA_X0_I0_D1+0:vgprValuA_X0_I0_D1+0+1], v[vgprLocalReadAddrA] offset:256 // L -> Reg lro=0 swapByteOffset=0 ti=256 vIdx=0 rIdx=1 oIdx=0 buffer=0 iui=0
v_mfma_f32_16x16x32_bf8_fp8 a[172+0:175+0], v[vgprValuB_X3_I0+10+0+0:vgprValuB_X3_I0+10+0+0+1], v[vgprValuA_X3_I0+6+0+0:vgprValuA_X3_I0+6+0+0+1], a[172:175]
/*  mfmaIndex:237  */
_ds_load_b64 v[vgprValuA_X0_I0_D2+0:vgprValuA_X0_I0_D2+0+1], v[vgprLocalReadAddrA] offset:512 // L -> Reg lro=0 swapByteOffset=0 ti=256 vIdx=0 rIdx=2 oIdx=0 buffer=0 iui=0
v_mfma_f32_16x16x32_bf8_fp8 a[168+0:171+0], v[vgprValuB_X3_I0+10+0+0:vgprValuB_X3_I0+10+0+0+1], v[vgprValuA_X3_I0+4+0+0:vgprValuA_X3_I0+4+0+0+1], a[168:171]
/*  mfmaIndex:238  */
_ds_load_b64 v[vgprValuA_X0_I0_D3+0:vgprValuA_X0_I0_D3+0+1], v[vgprLocalReadAddrA] offset:768 // L -> Reg lro=0 swapByteOffset=0 ti=256 vIdx=0 rIdx=3 oIdx=0 buffer=0 iui=0
v_mfma_f32_16x16x32_bf8_fp8 a[164+0:167+0], v[vgprValuB_X3_I0+10+0+0:vgprValuB_X3_I0+10+0+0+1], v[vgprValuA_X3_I0+2+0+0:vgprValuA_X3_I0+2+0+0+1], a[164:167]
/*  mfmaIndex:239  */
_ds_load_b64 v[vgprValuA_X0_I0_D4+0:vgprValuA_X0_I0_D4+0+1], v[vgprLocalReadAddrA] offset:1024 // L -> Reg lro=0 swapByteOffset=0 ti=256 vIdx=0 rIdx=4 oIdx=0 buffer=0 iui=0
v_mfma_f32_16x16x32_bf8_fp8 a[160+0:163+0], v[vgprValuB_X3_I0+10+0+0:vgprValuB_X3_I0+10+0+0+1], v[vgprValuA_X3_I0+0+0+0:vgprValuA_X3_I0+0+0+0+1], a[160:163]
/*  mfmaIndex:240  */
_ds_load_b64 v[vgprValuA_X0_I0_D5+0:vgprValuA_X0_I0_D5+0+1], v[vgprLocalReadAddrA] offset:1280 // L -> Reg lro=0 swapByteOffset=0 ti=256 vIdx=0 rIdx=5 oIdx=0 buffer=0 iui=0
v_mfma_f32_16x16x32_bf8_fp8 a[192+0:195+0], v[vgprValuB_X3_I0+12+0+0:vgprValuB_X3_I0+12+0+0+1], v[vgprValuA_X3_I0+0+0+0:vgprValuA_X3_I0+0+0+0+1], a[192:195]
/*  mfmaIndex:241  */
_ds_load_b64 v[vgprValuA_X0_I0_D6+0:vgprValuA_X0_I0_D6+0+1], v[vgprLocalReadAddrA] offset:1536 // L -> Reg lro=0 swapByteOffset=0 ti=256 vIdx=0 rIdx=6 oIdx=0 buffer=0 iui=0
v_mfma_f32_16x16x32_bf8_fp8 a[196+0:199+0], v[vgprValuB_X3_I0+12+0+0:vgprValuB_X3_I0+12+0+0+1], v[vgprValuA_X3_I0+2+0+0:vgprValuA_X3_I0+2+0+0+1], a[196:199]
/*  mfmaIndex:242  */
_ds_load_b64 v[vgprValuA_X0_I0_D7+0:vgprValuA_X0_I0_D7+0+1], v[vgprLocalReadAddrA] offset:1792 // L -> Reg lro=0 swapByteOffset=0 ti=256 vIdx=0 rIdx=7 oIdx=0 buffer=0 iui=0
v_mfma_f32_16x16x32_bf8_fp8 a[200+0:203+0], v[vgprValuB_X3_I0+12+0+0:vgprValuB_X3_I0+12+0+0+1], v[vgprValuA_X3_I0+4+0+0:vgprValuA_X3_I0+4+0+0+1], a[200:203]
/*  mfmaIndex:243  */
_ds_load_b64 v[vgprValuB_X0_I0_D0+0:vgprValuB_X0_I0_D0+0+1], v[vgprLocalReadAddrB] offset:0 // L -> Reg lro=0 swapByteOffset=0 ti=256 vIdx=0 rIdx=0 oIdx=0 buffer=0 iui=0
v_mfma_f32_16x16x32_bf8_fp8 a[204+0:207+0], v[vgprValuB_X3_I0+12+0+0:vgprValuB_X3_I0+12+0+0+1], v[vgprValuA_X3_I0+6+0+0:vgprValuA_X3_I0+6+0+0+1], a[204:207]
/*  mfmaIndex:244  */
_ds_load_b64 v[vgprValuB_X0_I0_D1+0:vgprValuB_X0_I0_D1+0+1], v[vgprLocalReadAddrB] offset:256 // L -> Reg lro=0 swapByteOffset=0 ti=256 vIdx=0 rIdx=1 oIdx=0 buffer=0 iui=0
v_mfma_f32_16x16x32_bf8_fp8 a[208+0:211+0], v[vgprValuB_X3_I0+12+0+0:vgprValuB_X3_I0+12+0+0+1], v[vgprValuA_X3_I0+8+0+0:vgprValuA_X3_I0+8+0+0+1], a[208:211]
/*  mfmaIndex:245  */
_ds_load_b64 v[vgprValuB_X0_I0_D2+0:vgprValuB_X0_I0_D2+0+1], v[vgprLocalReadAddrB] offset:512 // L -> Reg lro=0 swapByteOffset=0 ti=256 vIdx=0 rIdx=2 oIdx=0 buffer=0 iui=0
v_mfma_f32_16x16x32_bf8_fp8 a[212+0:215+0], v[vgprValuB_X3_I0+12+0+0:vgprValuB_X3_I0+12+0+0+1], v[vgprValuA_X3_I0+10+0+0:vgprValuA_X3_I0+10+0+0+1], a[212:215]
/*  mfmaIndex:246  */
_ds_load_b64 v[vgprValuB_X0_I0_D3+0:vgprValuB_X0_I0_D3+0+1], v[vgprLocalReadAddrB] offset:768 // L -> Reg lro=0 swapByteOffset=0 ti=256 vIdx=0 rIdx=3 oIdx=0 buffer=0 iui=0
v_mfma_f32_16x16x32_bf8_fp8 a[216+0:219+0], v[vgprValuB_X3_I0+12+0+0:vgprValuB_X3_I0+12+0+0+1], v[vgprValuA_X3_I0+12+0+0:vgprValuA_X3_I0+12+0+0+1], a[216:219]
/*  mfmaIndex:247  */
_ds_load_b64 v[vgprValuB_X0_I0_D4+0:vgprValuB_X0_I0_D4+0+1], v[vgprLocalReadAddrB] offset:1024 // L -> Reg lro=0 swapByteOffset=0 ti=256 vIdx=0 rIdx=4 oIdx=0 buffer=0 iui=0
v_mfma_f32_16x16x32_bf8_fp8 a[220+0:223+0], v[vgprValuB_X3_I0+12+0+0:vgprValuB_X3_I0+12+0+0+1], v[vgprValuA_X3_I0+14+0+0:vgprValuA_X3_I0+14+0+0+1], a[220:223]
/*  mfmaIndex:248  */
_ds_load_b64 v[vgprValuB_X0_I0_D5+0:vgprValuB_X0_I0_D5+0+1], v[vgprLocalReadAddrB] offset:1280 // L -> Reg lro=0 swapByteOffset=0 ti=256 vIdx=0 rIdx=5 oIdx=0 buffer=0 iui=0
v_mfma_f32_16x16x32_bf8_fp8 a[252+0:255+0], v[vgprValuB_X3_I0+14+0+0:vgprValuB_X3_I0+14+0+0+1], v[vgprValuA_X3_I0+14+0+0:vgprValuA_X3_I0+14+0+0+1], a[252:255]
/*  mfmaIndex:249  */
_ds_load_b64 v[vgprValuB_X0_I0_D6+0:vgprValuB_X0_I0_D6+0+1], v[vgprLocalReadAddrB] offset:1536 // L -> Reg lro=0 swapByteOffset=0 ti=256 vIdx=0 rIdx=6 oIdx=0 buffer=0 iui=0
v_mfma_f32_16x16x32_bf8_fp8 a[248+0:251+0], v[vgprValuB_X3_I0+14+0+0:vgprValuB_X3_I0+14+0+0+1], v[vgprValuA_X3_I0+12+0+0:vgprValuA_X3_I0+12+0+0+1], a[248:251]
/*  mfmaIndex:250  */
_ds_load_b64 v[vgprValuB_X0_I0_D7+0:vgprValuB_X0_I0_D7+0+1], v[vgprLocalReadAddrB] offset:1792 // L -> Reg lro=0 swapByteOffset=0 ti=256 vIdx=0 rIdx=7 oIdx=0 buffer=0 iui=0
v_mfma_f32_16x16x32_bf8_fp8 a[244+0:247+0], v[vgprValuB_X3_I0+14+0+0:vgprValuB_X3_I0+14+0+0+1], v[vgprValuA_X3_I0+10+0+0:vgprValuA_X3_I0+10+0+0+1], a[244:247]
/*  mfmaIndex:251  */
v_mfma_f32_16x16x32_bf8_fp8 a[240+0:243+0], v[vgprValuB_X3_I0+14+0+0:vgprValuB_X3_I0+14+0+0+1], v[vgprValuA_X3_I0+8+0+0:vgprValuA_X3_I0+8+0+0+1], a[240:243]
/*  mfmaIndex:252  */
	;; [unrolled: 2-line block ×5, first 2 shown]
v_mfma_f32_16x16x32_bf8_fp8 a[224+0:227+0], v[vgprValuB_X3_I0+14+0+0:vgprValuB_X3_I0+14+0+0+1], v[vgprValuA_X3_I0+0+0+0:vgprValuA_X3_I0+0+0+0+1], a[224:227]
s_setprio 0                                        // store optimization

label_0014:


/******************************************/
/* Opt. NoLoadLoop Without PAP - Begin                                      */
/******************************************/

s_cmpk_eq_u32 s[sgprBeta], 0x0                     // Beta == 0
s_cbranch_scc0 OptNLL_End_17                       // Branch if Beta is not zero

s_cmp_eq_u32 s[sgprAlpha], 1.0                     // Alpha == 1.0 ?
s_cbranch_scc0 OptNLL_End_17                       // branch if alpha != 1

s_and_b32 s72, 255, s[sgprSizeI]                   // s72 = s[sgprSizeI] % 256
s_add_u32 s73, -0x1, s[sgprNumWorkGroups0]         // 
s_cmp_ge_u32 s[sgprWorkGroup0], s73                // wg0 >= nwg0-1 ?
s_cselect_b32 s72, s72, 0                          // set rMT0
s_cmpk_gt_u32 s72, 0x0                             // rMT0 > 0
s_cbranch_scc1 OptNLL_End_17                       // jump if edges required
s_and_b32 s72, 255, s[sgprSizeJ]                   // s72 = s[sgprSizeJ] % 256
s_add_u32 s73, -0x1, s[sgprNumWorkGroups1]         // 
s_cmp_ge_u32 s[sgprWorkGroup1], s73                // wg1 >= nwg1-1
s_cselect_b32 s72, s72, 0                          // set rMT1
s_cmpk_gt_u32 s72, 0x0                             // rMT1 > 0
s_cbranch_scc1 OptNLL_End_17                       // jump if edges required


	;; [unrolled: 1-line block ×3, first 2 shown]
/* Tail Loop in NoLoadLoop */
//numIterL = (((sizeL % LOCAL_DEPTHU) + LOCAL_SPLITU - 1) / LOCAL_SPLITU)
s_and_b32 s[sgprLoopCounterL], 127, s[sgprSizesSum+0] // s[sgprLoopCounterL] = s[sgprSizesSum+0] % 128
s_cmp_eq_u32 s[sgprLoopCounterL], 0x0              // numIterL == 0
s_cmov_b32 s[sgprLoopCounterL], 0x80               // Convert 0 to DepthU in tail loop NLL case


	;; [unrolled: 1-line block ×3, first 2 shown]
/* iter 0 (last unrolled loop) */

/*  grEndMfmaIndex:0, lwStartMfmaIndex:229, lwEndMfmaIndex:229  */
/*  numMfmaForLR:21, barrierMfmaIndex:234, LocalWritePerMfma:0.090 */
/*  mfmaIndex:0  */
s_waitcnt lgkmcnt(0)                               // lgkmcnt=0 vmcnt=-1wait for prior local read local write old=0, new=0 newLW=0 newLR=0
/* pack scheduling: packAIdx:6, packBIdx:6 */
v_perm_b32 v[vgprValuA_X0_I0+0], v[vgprValuA_X0_I0_D1+0], v[vgprValuA_X0_I0_D0+0], s[sgprPackKForV0] // select K=01 for vector=0
v_perm_b32 v[vgprPackTemp], v[vgprValuA_X0_I0_D3+0], v[vgprValuA_X0_I0_D2+0], s[sgprPackKForV0] // select K=23 for vector=0
_v_lshl_or_b32 v[vgprValuA_X0_I0+0], v[vgprPackTemp], 0x10, v[vgprValuA_X0_I0+0] // pack two half Vgpr to one Vgpr
v_perm_b32 v[vgprValuA_X0_I0+1], v[vgprValuA_X0_I0_D5+0], v[vgprValuA_X0_I0_D4+0], s[sgprPackKForV0] // select K=45 for vector=0
v_perm_b32 v[vgprPackTemp], v[vgprValuA_X0_I0_D7+0], v[vgprValuA_X0_I0_D6+0], s[sgprPackKForV0] // select K=67 for vector=0
_v_lshl_or_b32 v[vgprValuA_X0_I0+1], v[vgprPackTemp], 0x10, v[vgprValuA_X0_I0+1] // pack two half Vgpr to one Vgpr
v_perm_b32 v[vgprValuB_X0_I0+0], v[vgprValuB_X0_I0_D1+0], v[vgprValuB_X0_I0_D0+0], s[sgprPackKForV0] // select K=01 for vector=0
v_perm_b32 v[vgprPackTemp], v[vgprValuB_X0_I0_D3+0], v[vgprValuB_X0_I0_D2+0], s[sgprPackKForV0] // select K=23 for vector=0
_v_lshl_or_b32 v[vgprValuB_X0_I0+0], v[vgprPackTemp], 0x10, v[vgprValuB_X0_I0+0] // pack two half Vgpr to one Vgpr
v_perm_b32 v[vgprValuB_X0_I0+1], v[vgprValuB_X0_I0_D5+0], v[vgprValuB_X0_I0_D4+0], s[sgprPackKForV0] // select K=45 for vector=0
v_perm_b32 v[vgprPackTemp], v[vgprValuB_X0_I0_D7+0], v[vgprValuB_X0_I0_D6+0], s[sgprPackKForV0] // select K=67 for vector=0
_v_lshl_or_b32 v[vgprValuB_X0_I0+1], v[vgprPackTemp], 0x10, v[vgprValuB_X0_I0+1] // pack two half Vgpr to one Vgpr
v_perm_b32 v[vgprValuA_X0_I0+2], v[vgprValuA_X0_I0_D1+0], v[vgprValuA_X0_I0_D0+0], s[sgprPackKForV1] // select K=01 for vector=1
v_perm_b32 v[vgprPackTemp], v[vgprValuA_X0_I0_D3+0], v[vgprValuA_X0_I0_D2+0], s[sgprPackKForV1] // select K=23 for vector=1
_v_lshl_or_b32 v[vgprValuA_X0_I0+2], v[vgprPackTemp], 0x10, v[vgprValuA_X0_I0+2] // pack two half Vgpr to one Vgpr
v_perm_b32 v[vgprValuA_X0_I0+3], v[vgprValuA_X0_I0_D5+0], v[vgprValuA_X0_I0_D4+0], s[sgprPackKForV1] // select K=45 for vector=1
v_perm_b32 v[vgprPackTemp], v[vgprValuA_X0_I0_D7+0], v[vgprValuA_X0_I0_D6+0], s[sgprPackKForV1] // select K=67 for vector=1
_v_lshl_or_b32 v[vgprValuA_X0_I0+3], v[vgprPackTemp], 0x10, v[vgprValuA_X0_I0+3] // pack two half Vgpr to one Vgpr
s_nop 1
v_mfma_f32_16x16x32_bf8_fp8 a[0+0:3+0], v[vgprValuB_X0_I0+0+0+0:vgprValuB_X0_I0+0+0+0+1], v[vgprValuA_X0_I0+0+0+0:vgprValuA_X0_I0+0+0+0+1], a[0:3]
/*  mfmaIndex:1  */
_ds_load_b64 v[vgprValuA_X1_I0_D0+0:vgprValuA_X1_I0_D0+0+1], v[vgprLocalReadAddrA] offset:8192 // L -> Reg lro=8192 swapByteOffset=0 ti=256 vIdx=0 rIdx=0 oIdx=0 buffer=1 iui=0
/* pack scheduling: packAIdx:12, packBIdx:6 */
v_perm_b32 v[vgprValuA_X0_I0+4], v[vgprValuA_X0_I0_D1+0], v[vgprValuA_X0_I0_D0+0], s[sgprPackKForV2] // select K=01 for vector=2
v_perm_b32 v[vgprPackTemp], v[vgprValuA_X0_I0_D3+0], v[vgprValuA_X0_I0_D2+0], s[sgprPackKForV2] // select K=23 for vector=2
_v_lshl_or_b32 v[vgprValuA_X0_I0+4], v[vgprPackTemp], 0x10, v[vgprValuA_X0_I0+4] // pack two half Vgpr to one Vgpr
v_perm_b32 v[vgprValuA_X0_I0+5], v[vgprValuA_X0_I0_D5+0], v[vgprValuA_X0_I0_D4+0], s[sgprPackKForV2] // select K=45 for vector=2
v_perm_b32 v[vgprPackTemp], v[vgprValuA_X0_I0_D7+0], v[vgprValuA_X0_I0_D6+0], s[sgprPackKForV2] // select K=67 for vector=2
_v_lshl_or_b32 v[vgprValuA_X0_I0+5], v[vgprPackTemp], 0x10, v[vgprValuA_X0_I0+5] // pack two half Vgpr to one Vgpr
v_mfma_f32_16x16x32_bf8_fp8 a[4+0:7+0], v[vgprValuB_X0_I0+0+0+0:vgprValuB_X0_I0+0+0+0+1], v[vgprValuA_X0_I0+2+0+0:vgprValuA_X0_I0+2+0+0+1], a[4:7]
/*  mfmaIndex:2  */
_ds_load_b64 v[vgprValuA_X1_I0_D1+0:vgprValuA_X1_I0_D1+0+1], v[vgprLocalReadAddrA] offset:8448 // L -> Reg lro=8192 swapByteOffset=0 ti=256 vIdx=0 rIdx=1 oIdx=0 buffer=1 iui=0
/* pack scheduling: packAIdx:18, packBIdx:6 */
v_perm_b32 v[vgprValuA_X0_I0+6], v[vgprValuA_X0_I0_D1+0], v[vgprValuA_X0_I0_D0+0], s[sgprPackKForV3] // select K=01 for vector=3
v_perm_b32 v[vgprPackTemp], v[vgprValuA_X0_I0_D3+0], v[vgprValuA_X0_I0_D2+0], s[sgprPackKForV3] // select K=23 for vector=3
_v_lshl_or_b32 v[vgprValuA_X0_I0+6], v[vgprPackTemp], 0x10, v[vgprValuA_X0_I0+6] // pack two half Vgpr to one Vgpr
v_perm_b32 v[vgprValuA_X0_I0+7], v[vgprValuA_X0_I0_D5+0], v[vgprValuA_X0_I0_D4+0], s[sgprPackKForV3] // select K=45 for vector=3
v_perm_b32 v[vgprPackTemp], v[vgprValuA_X0_I0_D7+0], v[vgprValuA_X0_I0_D6+0], s[sgprPackKForV3] // select K=67 for vector=3
_v_lshl_or_b32 v[vgprValuA_X0_I0+7], v[vgprPackTemp], 0x10, v[vgprValuA_X0_I0+7] // pack two half Vgpr to one Vgpr
v_mfma_f32_16x16x32_bf8_fp8 a[8+0:11+0], v[vgprValuB_X0_I0+0+0+0:vgprValuB_X0_I0+0+0+0+1], v[vgprValuA_X0_I0+4+0+0:vgprValuA_X0_I0+4+0+0+1], a[8:11]
/*  mfmaIndex:3  */
_ds_load_b64 v[vgprValuA_X1_I0_D2+0:vgprValuA_X1_I0_D2+0+1], v[vgprLocalReadAddrA] offset:8704 // L -> Reg lro=8192 swapByteOffset=0 ti=256 vIdx=0 rIdx=2 oIdx=0 buffer=1 iui=0
/* pack scheduling: packAIdx:24, packBIdx:6 */
v_perm_b32 v[vgprValuA_X0_I0+8], v[vgprValuA_X0_I0_D1+1], v[vgprValuA_X0_I0_D0+1], s[sgprPackKForV0] // select K=01 for vector=0
v_perm_b32 v[vgprPackTemp], v[vgprValuA_X0_I0_D3+1], v[vgprValuA_X0_I0_D2+1], s[sgprPackKForV0] // select K=23 for vector=0
_v_lshl_or_b32 v[vgprValuA_X0_I0+8], v[vgprPackTemp], 0x10, v[vgprValuA_X0_I0+8] // pack two half Vgpr to one Vgpr
v_perm_b32 v[vgprValuA_X0_I0+9], v[vgprValuA_X0_I0_D5+1], v[vgprValuA_X0_I0_D4+1], s[sgprPackKForV0] // select K=45 for vector=0
v_perm_b32 v[vgprPackTemp], v[vgprValuA_X0_I0_D7+1], v[vgprValuA_X0_I0_D6+1], s[sgprPackKForV0] // select K=67 for vector=0
_v_lshl_or_b32 v[vgprValuA_X0_I0+9], v[vgprPackTemp], 0x10, v[vgprValuA_X0_I0+9] // pack two half Vgpr to one Vgpr
v_mfma_f32_16x16x32_bf8_fp8 a[12+0:15+0], v[vgprValuB_X0_I0+0+0+0:vgprValuB_X0_I0+0+0+0+1], v[vgprValuA_X0_I0+6+0+0:vgprValuA_X0_I0+6+0+0+1], a[12:15]
/*  mfmaIndex:4  */
_ds_load_b64 v[vgprValuA_X1_I0_D3+0:vgprValuA_X1_I0_D3+0+1], v[vgprLocalReadAddrA] offset:8960 // L -> Reg lro=8192 swapByteOffset=0 ti=256 vIdx=0 rIdx=3 oIdx=0 buffer=1 iui=0
/* pack scheduling: packAIdx:30, packBIdx:6 */
v_perm_b32 v[vgprValuA_X0_I0+10], v[vgprValuA_X0_I0_D1+1], v[vgprValuA_X0_I0_D0+1], s[sgprPackKForV1] // select K=01 for vector=1
v_perm_b32 v[vgprPackTemp], v[vgprValuA_X0_I0_D3+1], v[vgprValuA_X0_I0_D2+1], s[sgprPackKForV1] // select K=23 for vector=1
_v_lshl_or_b32 v[vgprValuA_X0_I0+10], v[vgprPackTemp], 0x10, v[vgprValuA_X0_I0+10] // pack two half Vgpr to one Vgpr
v_perm_b32 v[vgprValuA_X0_I0+11], v[vgprValuA_X0_I0_D5+1], v[vgprValuA_X0_I0_D4+1], s[sgprPackKForV1] // select K=45 for vector=1
v_perm_b32 v[vgprPackTemp], v[vgprValuA_X0_I0_D7+1], v[vgprValuA_X0_I0_D6+1], s[sgprPackKForV1] // select K=67 for vector=1
_v_lshl_or_b32 v[vgprValuA_X0_I0+11], v[vgprPackTemp], 0x10, v[vgprValuA_X0_I0+11] // pack two half Vgpr to one Vgpr
v_mfma_f32_16x16x32_bf8_fp8 a[16+0:19+0], v[vgprValuB_X0_I0+0+0+0:vgprValuB_X0_I0+0+0+0+1], v[vgprValuA_X0_I0+8+0+0:vgprValuA_X0_I0+8+0+0+1], a[16:19]
/*  mfmaIndex:5  */
_ds_load_b64 v[vgprValuA_X1_I0_D4+0:vgprValuA_X1_I0_D4+0+1], v[vgprLocalReadAddrA] offset:9216 // L -> Reg lro=8192 swapByteOffset=0 ti=256 vIdx=0 rIdx=4 oIdx=0 buffer=1 iui=0
/* pack scheduling: packAIdx:36, packBIdx:6 */
v_perm_b32 v[vgprValuA_X0_I0+12], v[vgprValuA_X0_I0_D1+1], v[vgprValuA_X0_I0_D0+1], s[sgprPackKForV2] // select K=01 for vector=2
v_perm_b32 v[vgprPackTemp], v[vgprValuA_X0_I0_D3+1], v[vgprValuA_X0_I0_D2+1], s[sgprPackKForV2] // select K=23 for vector=2
_v_lshl_or_b32 v[vgprValuA_X0_I0+12], v[vgprPackTemp], 0x10, v[vgprValuA_X0_I0+12] // pack two half Vgpr to one Vgpr
v_perm_b32 v[vgprValuA_X0_I0+13], v[vgprValuA_X0_I0_D5+1], v[vgprValuA_X0_I0_D4+1], s[sgprPackKForV2] // select K=45 for vector=2
v_perm_b32 v[vgprPackTemp], v[vgprValuA_X0_I0_D7+1], v[vgprValuA_X0_I0_D6+1], s[sgprPackKForV2] // select K=67 for vector=2
_v_lshl_or_b32 v[vgprValuA_X0_I0+13], v[vgprPackTemp], 0x10, v[vgprValuA_X0_I0+13] // pack two half Vgpr to one Vgpr
v_mfma_f32_16x16x32_bf8_fp8 a[20+0:23+0], v[vgprValuB_X0_I0+0+0+0:vgprValuB_X0_I0+0+0+0+1], v[vgprValuA_X0_I0+10+0+0:vgprValuA_X0_I0+10+0+0+1], a[20:23]
/*  mfmaIndex:6  */
_ds_load_b64 v[vgprValuA_X1_I0_D5+0:vgprValuA_X1_I0_D5+0+1], v[vgprLocalReadAddrA] offset:9472 // L -> Reg lro=8192 swapByteOffset=0 ti=256 vIdx=0 rIdx=5 oIdx=0 buffer=1 iui=0
/* pack scheduling: packAIdx:42, packBIdx:6 */
v_perm_b32 v[vgprValuA_X0_I0+14], v[vgprValuA_X0_I0_D1+1], v[vgprValuA_X0_I0_D0+1], s[sgprPackKForV3] // select K=01 for vector=3
v_perm_b32 v[vgprPackTemp], v[vgprValuA_X0_I0_D3+1], v[vgprValuA_X0_I0_D2+1], s[sgprPackKForV3] // select K=23 for vector=3
_v_lshl_or_b32 v[vgprValuA_X0_I0+14], v[vgprPackTemp], 0x10, v[vgprValuA_X0_I0+14] // pack two half Vgpr to one Vgpr
v_perm_b32 v[vgprValuA_X0_I0+15], v[vgprValuA_X0_I0_D5+1], v[vgprValuA_X0_I0_D4+1], s[sgprPackKForV3] // select K=45 for vector=3
v_perm_b32 v[vgprPackTemp], v[vgprValuA_X0_I0_D7+1], v[vgprValuA_X0_I0_D6+1], s[sgprPackKForV3] // select K=67 for vector=3
_v_lshl_or_b32 v[vgprValuA_X0_I0+15], v[vgprPackTemp], 0x10, v[vgprValuA_X0_I0+15] // pack two half Vgpr to one Vgpr
v_mfma_f32_16x16x32_bf8_fp8 a[24+0:27+0], v[vgprValuB_X0_I0+0+0+0:vgprValuB_X0_I0+0+0+0+1], v[vgprValuA_X0_I0+12+0+0:vgprValuA_X0_I0+12+0+0+1], a[24:27]
/*  mfmaIndex:7  */
_ds_load_b64 v[vgprValuA_X1_I0_D6+0:vgprValuA_X1_I0_D6+0+1], v[vgprLocalReadAddrA] offset:9728 // L -> Reg lro=8192 swapByteOffset=0 ti=256 vIdx=0 rIdx=6 oIdx=0 buffer=1 iui=0
/* pack scheduling: packAIdx:48, packBIdx:6 */
v_perm_b32 v[vgprValuB_X0_I0+2], v[vgprValuB_X0_I0_D1+0], v[vgprValuB_X0_I0_D0+0], s[sgprPackKForV1] // select K=01 for vector=1
v_perm_b32 v[vgprPackTemp], v[vgprValuB_X0_I0_D3+0], v[vgprValuB_X0_I0_D2+0], s[sgprPackKForV1] // select K=23 for vector=1
_v_lshl_or_b32 v[vgprValuB_X0_I0+2], v[vgprPackTemp], 0x10, v[vgprValuB_X0_I0+2] // pack two half Vgpr to one Vgpr
v_perm_b32 v[vgprValuB_X0_I0+3], v[vgprValuB_X0_I0_D5+0], v[vgprValuB_X0_I0_D4+0], s[sgprPackKForV1] // select K=45 for vector=1
v_perm_b32 v[vgprPackTemp], v[vgprValuB_X0_I0_D7+0], v[vgprValuB_X0_I0_D6+0], s[sgprPackKForV1] // select K=67 for vector=1
_v_lshl_or_b32 v[vgprValuB_X0_I0+3], v[vgprPackTemp], 0x10, v[vgprValuB_X0_I0+3] // pack two half Vgpr to one Vgpr
v_mfma_f32_16x16x32_bf8_fp8 a[28+0:31+0], v[vgprValuB_X0_I0+0+0+0:vgprValuB_X0_I0+0+0+0+1], v[vgprValuA_X0_I0+14+0+0:vgprValuA_X0_I0+14+0+0+1], a[28:31]
/*  mfmaIndex:8  */
_ds_load_b64 v[vgprValuA_X1_I0_D7+0:vgprValuA_X1_I0_D7+0+1], v[vgprLocalReadAddrA] offset:9984 // L -> Reg lro=8192 swapByteOffset=0 ti=256 vIdx=0 rIdx=7 oIdx=0 buffer=1 iui=0
/* pack scheduling: packAIdx:48, packBIdx:12 */
v_perm_b32 v[vgprValuB_X0_I0+4], v[vgprValuB_X0_I0_D1+0], v[vgprValuB_X0_I0_D0+0], s[sgprPackKForV2] // select K=01 for vector=2
v_perm_b32 v[vgprPackTemp], v[vgprValuB_X0_I0_D3+0], v[vgprValuB_X0_I0_D2+0], s[sgprPackKForV2] // select K=23 for vector=2
_v_lshl_or_b32 v[vgprValuB_X0_I0+4], v[vgprPackTemp], 0x10, v[vgprValuB_X0_I0+4] // pack two half Vgpr to one Vgpr
v_perm_b32 v[vgprValuB_X0_I0+5], v[vgprValuB_X0_I0_D5+0], v[vgprValuB_X0_I0_D4+0], s[sgprPackKForV2] // select K=45 for vector=2
v_perm_b32 v[vgprPackTemp], v[vgprValuB_X0_I0_D7+0], v[vgprValuB_X0_I0_D6+0], s[sgprPackKForV2] // select K=67 for vector=2
_v_lshl_or_b32 v[vgprValuB_X0_I0+5], v[vgprPackTemp], 0x10, v[vgprValuB_X0_I0+5] // pack two half Vgpr to one Vgpr
v_mfma_f32_16x16x32_bf8_fp8 a[60+0:63+0], v[vgprValuB_X0_I0+2+0+0:vgprValuB_X0_I0+2+0+0+1], v[vgprValuA_X0_I0+14+0+0:vgprValuA_X0_I0+14+0+0+1], a[60:63]
/*  mfmaIndex:9  */
_ds_load_b64 v[vgprValuB_X1_I0_D0+0:vgprValuB_X1_I0_D0+0+1], v[vgprLocalReadAddrB] offset:8192 // L -> Reg lro=8192 swapByteOffset=0 ti=256 vIdx=0 rIdx=0 oIdx=0 buffer=1 iui=0
/* pack scheduling: packAIdx:48, packBIdx:12 */
v_perm_b32 v[vgprValuB_X0_I0+6], v[vgprValuB_X0_I0_D1+0], v[vgprValuB_X0_I0_D0+0], s[sgprPackKForV3] // select K=01 for vector=3
v_perm_b32 v[vgprPackTemp], v[vgprValuB_X0_I0_D3+0], v[vgprValuB_X0_I0_D2+0], s[sgprPackKForV3] // select K=23 for vector=3
_v_lshl_or_b32 v[vgprValuB_X0_I0+6], v[vgprPackTemp], 0x10, v[vgprValuB_X0_I0+6] // pack two half Vgpr to one Vgpr
v_perm_b32 v[vgprValuB_X0_I0+7], v[vgprValuB_X0_I0_D5+0], v[vgprValuB_X0_I0_D4+0], s[sgprPackKForV3] // select K=45 for vector=3
v_perm_b32 v[vgprPackTemp], v[vgprValuB_X0_I0_D7+0], v[vgprValuB_X0_I0_D6+0], s[sgprPackKForV3] // select K=67 for vector=3
_v_lshl_or_b32 v[vgprValuB_X0_I0+7], v[vgprPackTemp], 0x10, v[vgprValuB_X0_I0+7] // pack two half Vgpr to one Vgpr
v_mfma_f32_16x16x32_bf8_fp8 a[56+0:59+0], v[vgprValuB_X0_I0+2+0+0:vgprValuB_X0_I0+2+0+0+1], v[vgprValuA_X0_I0+12+0+0:vgprValuA_X0_I0+12+0+0+1], a[56:59]
/*  mfmaIndex:10  */
_ds_load_b64 v[vgprValuB_X1_I0_D1+0:vgprValuB_X1_I0_D1+0+1], v[vgprLocalReadAddrB] offset:8448 // L -> Reg lro=8192 swapByteOffset=0 ti=256 vIdx=0 rIdx=1 oIdx=0 buffer=1 iui=0
/* pack scheduling: packAIdx:48, packBIdx:12 */
v_perm_b32 v[vgprValuB_X0_I0+8], v[vgprValuB_X0_I0_D1+1], v[vgprValuB_X0_I0_D0+1], s[sgprPackKForV0] // select K=01 for vector=0
v_perm_b32 v[vgprPackTemp], v[vgprValuB_X0_I0_D3+1], v[vgprValuB_X0_I0_D2+1], s[sgprPackKForV0] // select K=23 for vector=0
_v_lshl_or_b32 v[vgprValuB_X0_I0+8], v[vgprPackTemp], 0x10, v[vgprValuB_X0_I0+8] // pack two half Vgpr to one Vgpr
v_perm_b32 v[vgprValuB_X0_I0+9], v[vgprValuB_X0_I0_D5+1], v[vgprValuB_X0_I0_D4+1], s[sgprPackKForV0] // select K=45 for vector=0
v_perm_b32 v[vgprPackTemp], v[vgprValuB_X0_I0_D7+1], v[vgprValuB_X0_I0_D6+1], s[sgprPackKForV0] // select K=67 for vector=0
_v_lshl_or_b32 v[vgprValuB_X0_I0+9], v[vgprPackTemp], 0x10, v[vgprValuB_X0_I0+9] // pack two half Vgpr to one Vgpr
v_mfma_f32_16x16x32_bf8_fp8 a[52+0:55+0], v[vgprValuB_X0_I0+2+0+0:vgprValuB_X0_I0+2+0+0+1], v[vgprValuA_X0_I0+10+0+0:vgprValuA_X0_I0+10+0+0+1], a[52:55]
/*  mfmaIndex:11  */
_ds_load_b64 v[vgprValuB_X1_I0_D2+0:vgprValuB_X1_I0_D2+0+1], v[vgprLocalReadAddrB] offset:8704 // L -> Reg lro=8192 swapByteOffset=0 ti=256 vIdx=0 rIdx=2 oIdx=0 buffer=1 iui=0
/* pack scheduling: packAIdx:48, packBIdx:12 */
v_perm_b32 v[vgprValuB_X0_I0+10], v[vgprValuB_X0_I0_D1+1], v[vgprValuB_X0_I0_D0+1], s[sgprPackKForV1] // select K=01 for vector=1
v_perm_b32 v[vgprPackTemp], v[vgprValuB_X0_I0_D3+1], v[vgprValuB_X0_I0_D2+1], s[sgprPackKForV1] // select K=23 for vector=1
_v_lshl_or_b32 v[vgprValuB_X0_I0+10], v[vgprPackTemp], 0x10, v[vgprValuB_X0_I0+10] // pack two half Vgpr to one Vgpr
v_perm_b32 v[vgprValuB_X0_I0+11], v[vgprValuB_X0_I0_D5+1], v[vgprValuB_X0_I0_D4+1], s[sgprPackKForV1] // select K=45 for vector=1
v_perm_b32 v[vgprPackTemp], v[vgprValuB_X0_I0_D7+1], v[vgprValuB_X0_I0_D6+1], s[sgprPackKForV1] // select K=67 for vector=1
_v_lshl_or_b32 v[vgprValuB_X0_I0+11], v[vgprPackTemp], 0x10, v[vgprValuB_X0_I0+11] // pack two half Vgpr to one Vgpr
v_mfma_f32_16x16x32_bf8_fp8 a[48+0:51+0], v[vgprValuB_X0_I0+2+0+0:vgprValuB_X0_I0+2+0+0+1], v[vgprValuA_X0_I0+8+0+0:vgprValuA_X0_I0+8+0+0+1], a[48:51]
/*  mfmaIndex:12  */
_ds_load_b64 v[vgprValuB_X1_I0_D3+0:vgprValuB_X1_I0_D3+0+1], v[vgprLocalReadAddrB] offset:8960 // L -> Reg lro=8192 swapByteOffset=0 ti=256 vIdx=0 rIdx=3 oIdx=0 buffer=1 iui=0
/* pack scheduling: packAIdx:48, packBIdx:12 */
v_perm_b32 v[vgprValuB_X0_I0+12], v[vgprValuB_X0_I0_D1+1], v[vgprValuB_X0_I0_D0+1], s[sgprPackKForV2] // select K=01 for vector=2
v_perm_b32 v[vgprPackTemp], v[vgprValuB_X0_I0_D3+1], v[vgprValuB_X0_I0_D2+1], s[sgprPackKForV2] // select K=23 for vector=2
_v_lshl_or_b32 v[vgprValuB_X0_I0+12], v[vgprPackTemp], 0x10, v[vgprValuB_X0_I0+12] // pack two half Vgpr to one Vgpr
v_perm_b32 v[vgprValuB_X0_I0+13], v[vgprValuB_X0_I0_D5+1], v[vgprValuB_X0_I0_D4+1], s[sgprPackKForV2] // select K=45 for vector=2
v_perm_b32 v[vgprPackTemp], v[vgprValuB_X0_I0_D7+1], v[vgprValuB_X0_I0_D6+1], s[sgprPackKForV2] // select K=67 for vector=2
_v_lshl_or_b32 v[vgprValuB_X0_I0+13], v[vgprPackTemp], 0x10, v[vgprValuB_X0_I0+13] // pack two half Vgpr to one Vgpr
v_mfma_f32_16x16x32_bf8_fp8 a[44+0:47+0], v[vgprValuB_X0_I0+2+0+0:vgprValuB_X0_I0+2+0+0+1], v[vgprValuA_X0_I0+6+0+0:vgprValuA_X0_I0+6+0+0+1], a[44:47]
/*  mfmaIndex:13  */
_ds_load_b64 v[vgprValuB_X1_I0_D4+0:vgprValuB_X1_I0_D4+0+1], v[vgprLocalReadAddrB] offset:9216 // L -> Reg lro=8192 swapByteOffset=0 ti=256 vIdx=0 rIdx=4 oIdx=0 buffer=1 iui=0
/* pack scheduling: packAIdx:48, packBIdx:12 */
v_perm_b32 v[vgprValuB_X0_I0+14], v[vgprValuB_X0_I0_D1+1], v[vgprValuB_X0_I0_D0+1], s[sgprPackKForV3] // select K=01 for vector=3
v_perm_b32 v[vgprPackTemp], v[vgprValuB_X0_I0_D3+1], v[vgprValuB_X0_I0_D2+1], s[sgprPackKForV3] // select K=23 for vector=3
_v_lshl_or_b32 v[vgprValuB_X0_I0+14], v[vgprPackTemp], 0x10, v[vgprValuB_X0_I0+14] // pack two half Vgpr to one Vgpr
v_perm_b32 v[vgprValuB_X0_I0+15], v[vgprValuB_X0_I0_D5+1], v[vgprValuB_X0_I0_D4+1], s[sgprPackKForV3] // select K=45 for vector=3
v_perm_b32 v[vgprPackTemp], v[vgprValuB_X0_I0_D7+1], v[vgprValuB_X0_I0_D6+1], s[sgprPackKForV3] // select K=67 for vector=3
_v_lshl_or_b32 v[vgprValuB_X0_I0+15], v[vgprPackTemp], 0x10, v[vgprValuB_X0_I0+15] // pack two half Vgpr to one Vgpr
v_mfma_f32_16x16x32_bf8_fp8 a[40+0:43+0], v[vgprValuB_X0_I0+2+0+0:vgprValuB_X0_I0+2+0+0+1], v[vgprValuA_X0_I0+4+0+0:vgprValuA_X0_I0+4+0+0+1], a[40:43]
/*  mfmaIndex:14  */
_ds_load_b64 v[vgprValuB_X1_I0_D5+0:vgprValuB_X1_I0_D5+0+1], v[vgprLocalReadAddrB] offset:9472 // L -> Reg lro=8192 swapByteOffset=0 ti=256 vIdx=0 rIdx=5 oIdx=0 buffer=1 iui=0
v_mfma_f32_16x16x32_bf8_fp8 a[36+0:39+0], v[vgprValuB_X0_I0+2+0+0:vgprValuB_X0_I0+2+0+0+1], v[vgprValuA_X0_I0+2+0+0:vgprValuA_X0_I0+2+0+0+1], a[36:39]
/*  mfmaIndex:15  */
_ds_load_b64 v[vgprValuB_X1_I0_D6+0:vgprValuB_X1_I0_D6+0+1], v[vgprLocalReadAddrB] offset:9728 // L -> Reg lro=8192 swapByteOffset=0 ti=256 vIdx=0 rIdx=6 oIdx=0 buffer=1 iui=0
v_mfma_f32_16x16x32_bf8_fp8 a[32+0:35+0], v[vgprValuB_X0_I0+2+0+0:vgprValuB_X0_I0+2+0+0+1], v[vgprValuA_X0_I0+0+0+0:vgprValuA_X0_I0+0+0+0+1], a[32:35]
/*  mfmaIndex:16  */
_ds_load_b64 v[vgprValuB_X1_I0_D7+0:vgprValuB_X1_I0_D7+0+1], v[vgprLocalReadAddrB] offset:9984 // L -> Reg lro=8192 swapByteOffset=0 ti=256 vIdx=0 rIdx=7 oIdx=0 buffer=1 iui=0
v_mfma_f32_16x16x32_bf8_fp8 a[64+0:67+0], v[vgprValuB_X0_I0+4+0+0:vgprValuB_X0_I0+4+0+0+1], v[vgprValuA_X0_I0+0+0+0:vgprValuA_X0_I0+0+0+0+1], a[64:67]
/*  mfmaIndex:17  */
/* localReadsVacancy: latencyLeft 2 */
_ds_load_b64 v[vgprValuA_X2_I0_D0+0:vgprValuA_X2_I0_D0+0+1], v[vgprLocalReadAddrA] offset:16384 // L -> Reg lro=16384 swapByteOffset=0 ti=256 vIdx=0 rIdx=0 oIdx=0 buffer=2 iui=0
v_mfma_f32_16x16x32_bf8_fp8 a[68+0:71+0], v[vgprValuB_X0_I0+4+0+0:vgprValuB_X0_I0+4+0+0+1], v[vgprValuA_X0_I0+2+0+0:vgprValuA_X0_I0+2+0+0+1], a[68:71]
/*  mfmaIndex:18  */
/* localReadsVacancy: latencyLeft 2 */
_ds_load_b64 v[vgprValuA_X2_I0_D1+0:vgprValuA_X2_I0_D1+0+1], v[vgprLocalReadAddrA] offset:16640 // L -> Reg lro=16384 swapByteOffset=0 ti=256 vIdx=0 rIdx=1 oIdx=0 buffer=2 iui=0
v_mfma_f32_16x16x32_bf8_fp8 a[72+0:75+0], v[vgprValuB_X0_I0+4+0+0:vgprValuB_X0_I0+4+0+0+1], v[vgprValuA_X0_I0+4+0+0:vgprValuA_X0_I0+4+0+0+1], a[72:75]
/*  mfmaIndex:19  */
/* localReadsVacancy: latencyLeft 2 */
_ds_load_b64 v[vgprValuA_X2_I0_D2+0:vgprValuA_X2_I0_D2+0+1], v[vgprLocalReadAddrA] offset:16896 // L -> Reg lro=16384 swapByteOffset=0 ti=256 vIdx=0 rIdx=2 oIdx=0 buffer=2 iui=0
v_mfma_f32_16x16x32_bf8_fp8 a[76+0:79+0], v[vgprValuB_X0_I0+4+0+0:vgprValuB_X0_I0+4+0+0+1], v[vgprValuA_X0_I0+6+0+0:vgprValuA_X0_I0+6+0+0+1], a[76:79]
/*  mfmaIndex:20  */
/* localReadsVacancy: latencyLeft 2 */
_ds_load_b64 v[vgprValuA_X2_I0_D3+0:vgprValuA_X2_I0_D3+0+1], v[vgprLocalReadAddrA] offset:17152 // L -> Reg lro=16384 swapByteOffset=0 ti=256 vIdx=0 rIdx=3 oIdx=0 buffer=2 iui=0
v_mfma_f32_16x16x32_bf8_fp8 a[80+0:83+0], v[vgprValuB_X0_I0+4+0+0:vgprValuB_X0_I0+4+0+0+1], v[vgprValuA_X0_I0+8+0+0:vgprValuA_X0_I0+8+0+0+1], a[80:83]
/*  mfmaIndex:21  */
/* localReadsVacancy: latencyLeft 2 */
_ds_load_b64 v[vgprValuA_X2_I0_D4+0:vgprValuA_X2_I0_D4+0+1], v[vgprLocalReadAddrA] offset:17408 // L -> Reg lro=16384 swapByteOffset=0 ti=256 vIdx=0 rIdx=4 oIdx=0 buffer=2 iui=0
v_mfma_f32_16x16x32_bf8_fp8 a[84+0:87+0], v[vgprValuB_X0_I0+4+0+0:vgprValuB_X0_I0+4+0+0+1], v[vgprValuA_X0_I0+10+0+0:vgprValuA_X0_I0+10+0+0+1], a[84:87]
/*  mfmaIndex:22  */
/* localReadsVacancy: latencyLeft 2 */
_ds_load_b64 v[vgprValuA_X2_I0_D5+0:vgprValuA_X2_I0_D5+0+1], v[vgprLocalReadAddrA] offset:17664 // L -> Reg lro=16384 swapByteOffset=0 ti=256 vIdx=0 rIdx=5 oIdx=0 buffer=2 iui=0
v_mfma_f32_16x16x32_bf8_fp8 a[88+0:91+0], v[vgprValuB_X0_I0+4+0+0:vgprValuB_X0_I0+4+0+0+1], v[vgprValuA_X0_I0+12+0+0:vgprValuA_X0_I0+12+0+0+1], a[88:91]
/*  mfmaIndex:23  */
/* localReadsVacancy: latencyLeft 2 */
_ds_load_b64 v[vgprValuA_X2_I0_D6+0:vgprValuA_X2_I0_D6+0+1], v[vgprLocalReadAddrA] offset:17920 // L -> Reg lro=16384 swapByteOffset=0 ti=256 vIdx=0 rIdx=6 oIdx=0 buffer=2 iui=0
v_mfma_f32_16x16x32_bf8_fp8 a[92+0:95+0], v[vgprValuB_X0_I0+4+0+0:vgprValuB_X0_I0+4+0+0+1], v[vgprValuA_X0_I0+14+0+0:vgprValuA_X0_I0+14+0+0+1], a[92:95]
/*  mfmaIndex:24  */
/* localReadsVacancy: latencyLeft 2 */
_ds_load_b64 v[vgprValuA_X2_I0_D7+0:vgprValuA_X2_I0_D7+0+1], v[vgprLocalReadAddrA] offset:18176 // L -> Reg lro=16384 swapByteOffset=0 ti=256 vIdx=0 rIdx=7 oIdx=0 buffer=2 iui=0
v_mfma_f32_16x16x32_bf8_fp8 a[124+0:127+0], v[vgprValuB_X0_I0+6+0+0:vgprValuB_X0_I0+6+0+0+1], v[vgprValuA_X0_I0+14+0+0:vgprValuA_X0_I0+14+0+0+1], a[124:127]
/*  mfmaIndex:25  */
/* localReadsVacancy: latencyLeft 2 */
_ds_load_b64 v[vgprValuB_X2_I0_D0+0:vgprValuB_X2_I0_D0+0+1], v[vgprLocalReadAddrB] offset:16384 // L -> Reg lro=16384 swapByteOffset=0 ti=256 vIdx=0 rIdx=0 oIdx=0 buffer=2 iui=0
v_mfma_f32_16x16x32_bf8_fp8 a[120+0:123+0], v[vgprValuB_X0_I0+6+0+0:vgprValuB_X0_I0+6+0+0+1], v[vgprValuA_X0_I0+12+0+0:vgprValuA_X0_I0+12+0+0+1], a[120:123]
/*  mfmaIndex:26  */
/* localReadsVacancy: latencyLeft 2 */
_ds_load_b64 v[vgprValuB_X2_I0_D1+0:vgprValuB_X2_I0_D1+0+1], v[vgprLocalReadAddrB] offset:16640 // L -> Reg lro=16384 swapByteOffset=0 ti=256 vIdx=0 rIdx=1 oIdx=0 buffer=2 iui=0
v_mfma_f32_16x16x32_bf8_fp8 a[116+0:119+0], v[vgprValuB_X0_I0+6+0+0:vgprValuB_X0_I0+6+0+0+1], v[vgprValuA_X0_I0+10+0+0:vgprValuA_X0_I0+10+0+0+1], a[116:119]
/*  mfmaIndex:27  */
/* localReadsVacancy: latencyLeft 2 */
_ds_load_b64 v[vgprValuB_X2_I0_D2+0:vgprValuB_X2_I0_D2+0+1], v[vgprLocalReadAddrB] offset:16896 // L -> Reg lro=16384 swapByteOffset=0 ti=256 vIdx=0 rIdx=2 oIdx=0 buffer=2 iui=0
v_mfma_f32_16x16x32_bf8_fp8 a[112+0:115+0], v[vgprValuB_X0_I0+6+0+0:vgprValuB_X0_I0+6+0+0+1], v[vgprValuA_X0_I0+8+0+0:vgprValuA_X0_I0+8+0+0+1], a[112:115]
/*  mfmaIndex:28  */
/* localReadsVacancy: latencyLeft 2 */
_ds_load_b64 v[vgprValuB_X2_I0_D3+0:vgprValuB_X2_I0_D3+0+1], v[vgprLocalReadAddrB] offset:17152 // L -> Reg lro=16384 swapByteOffset=0 ti=256 vIdx=0 rIdx=3 oIdx=0 buffer=2 iui=0
v_mfma_f32_16x16x32_bf8_fp8 a[108+0:111+0], v[vgprValuB_X0_I0+6+0+0:vgprValuB_X0_I0+6+0+0+1], v[vgprValuA_X0_I0+6+0+0:vgprValuA_X0_I0+6+0+0+1], a[108:111]
/*  mfmaIndex:29  */
/* localReadsVacancy: latencyLeft 2 */
_ds_load_b64 v[vgprValuB_X2_I0_D4+0:vgprValuB_X2_I0_D4+0+1], v[vgprLocalReadAddrB] offset:17408 // L -> Reg lro=16384 swapByteOffset=0 ti=256 vIdx=0 rIdx=4 oIdx=0 buffer=2 iui=0
v_mfma_f32_16x16x32_bf8_fp8 a[104+0:107+0], v[vgprValuB_X0_I0+6+0+0:vgprValuB_X0_I0+6+0+0+1], v[vgprValuA_X0_I0+4+0+0:vgprValuA_X0_I0+4+0+0+1], a[104:107]
/*  mfmaIndex:30  */
/* localReadsVacancy: latencyLeft 2 */
_ds_load_b64 v[vgprValuB_X2_I0_D5+0:vgprValuB_X2_I0_D5+0+1], v[vgprLocalReadAddrB] offset:17664 // L -> Reg lro=16384 swapByteOffset=0 ti=256 vIdx=0 rIdx=5 oIdx=0 buffer=2 iui=0
v_mfma_f32_16x16x32_bf8_fp8 a[100+0:103+0], v[vgprValuB_X0_I0+6+0+0:vgprValuB_X0_I0+6+0+0+1], v[vgprValuA_X0_I0+2+0+0:vgprValuA_X0_I0+2+0+0+1], a[100:103]
/*  mfmaIndex:31  */
/* localReadsVacancy: latencyLeft 2 */
_ds_load_b64 v[vgprValuB_X2_I0_D6+0:vgprValuB_X2_I0_D6+0+1], v[vgprLocalReadAddrB] offset:17920 // L -> Reg lro=16384 swapByteOffset=0 ti=256 vIdx=0 rIdx=6 oIdx=0 buffer=2 iui=0
v_mfma_f32_16x16x32_bf8_fp8 a[96+0:99+0], v[vgprValuB_X0_I0+6+0+0:vgprValuB_X0_I0+6+0+0+1], v[vgprValuA_X0_I0+0+0+0:vgprValuA_X0_I0+0+0+0+1], a[96:99]
/*  mfmaIndex:32  */
/* localReadsVacancy: latencyLeft 2 */
_ds_load_b64 v[vgprValuB_X2_I0_D7+0:vgprValuB_X2_I0_D7+0+1], v[vgprLocalReadAddrB] offset:18176 // L -> Reg lro=16384 swapByteOffset=0 ti=256 vIdx=0 rIdx=7 oIdx=0 buffer=2 iui=0
v_mfma_f32_16x16x32_bf8_fp8 a[128+0:131+0], v[vgprValuB_X0_I0+8+0+0:vgprValuB_X0_I0+8+0+0+1], v[vgprValuA_X0_I0+0+0+0:vgprValuA_X0_I0+0+0+0+1], a[128:131]
/*  mfmaIndex:33  */
/* localReadsVacancy: latencyLeft 2 */
_ds_load_b64 v[vgprValuA_X3_I0_D0+0:vgprValuA_X3_I0_D0+0+1], v[vgprLocalReadAddrA] offset:24576 // L -> Reg lro=24576 swapByteOffset=0 ti=256 vIdx=0 rIdx=0 oIdx=0 buffer=3 iui=0
v_mfma_f32_16x16x32_bf8_fp8 a[132+0:135+0], v[vgprValuB_X0_I0+8+0+0:vgprValuB_X0_I0+8+0+0+1], v[vgprValuA_X0_I0+2+0+0:vgprValuA_X0_I0+2+0+0+1], a[132:135]
/*  mfmaIndex:34  */
/* localReadsVacancy: latencyLeft 2 */
_ds_load_b64 v[vgprValuA_X3_I0_D1+0:vgprValuA_X3_I0_D1+0+1], v[vgprLocalReadAddrA] offset:24832 // L -> Reg lro=24576 swapByteOffset=0 ti=256 vIdx=0 rIdx=1 oIdx=0 buffer=3 iui=0
v_mfma_f32_16x16x32_bf8_fp8 a[136+0:139+0], v[vgprValuB_X0_I0+8+0+0:vgprValuB_X0_I0+8+0+0+1], v[vgprValuA_X0_I0+4+0+0:vgprValuA_X0_I0+4+0+0+1], a[136:139]
/*  mfmaIndex:35  */
/* localReadsVacancy: latencyLeft 2 */
_ds_load_b64 v[vgprValuA_X3_I0_D2+0:vgprValuA_X3_I0_D2+0+1], v[vgprLocalReadAddrA] offset:25088 // L -> Reg lro=24576 swapByteOffset=0 ti=256 vIdx=0 rIdx=2 oIdx=0 buffer=3 iui=0
v_mfma_f32_16x16x32_bf8_fp8 a[140+0:143+0], v[vgprValuB_X0_I0+8+0+0:vgprValuB_X0_I0+8+0+0+1], v[vgprValuA_X0_I0+6+0+0:vgprValuA_X0_I0+6+0+0+1], a[140:143]
/*  mfmaIndex:36  */
/* localReadsVacancy: latencyLeft 2 */
_ds_load_b64 v[vgprValuA_X3_I0_D3+0:vgprValuA_X3_I0_D3+0+1], v[vgprLocalReadAddrA] offset:25344 // L -> Reg lro=24576 swapByteOffset=0 ti=256 vIdx=0 rIdx=3 oIdx=0 buffer=3 iui=0
v_mfma_f32_16x16x32_bf8_fp8 a[144+0:147+0], v[vgprValuB_X0_I0+8+0+0:vgprValuB_X0_I0+8+0+0+1], v[vgprValuA_X0_I0+8+0+0:vgprValuA_X0_I0+8+0+0+1], a[144:147]
/*  mfmaIndex:37  */
/* localReadsVacancy: latencyLeft 2 */
_ds_load_b64 v[vgprValuA_X3_I0_D4+0:vgprValuA_X3_I0_D4+0+1], v[vgprLocalReadAddrA] offset:25600 // L -> Reg lro=24576 swapByteOffset=0 ti=256 vIdx=0 rIdx=4 oIdx=0 buffer=3 iui=0
v_mfma_f32_16x16x32_bf8_fp8 a[148+0:151+0], v[vgprValuB_X0_I0+8+0+0:vgprValuB_X0_I0+8+0+0+1], v[vgprValuA_X0_I0+10+0+0:vgprValuA_X0_I0+10+0+0+1], a[148:151]
/*  mfmaIndex:38  */
/* localReadsVacancy: latencyLeft 2 */
_ds_load_b64 v[vgprValuA_X3_I0_D5+0:vgprValuA_X3_I0_D5+0+1], v[vgprLocalReadAddrA] offset:25856 // L -> Reg lro=24576 swapByteOffset=0 ti=256 vIdx=0 rIdx=5 oIdx=0 buffer=3 iui=0
v_mfma_f32_16x16x32_bf8_fp8 a[152+0:155+0], v[vgprValuB_X0_I0+8+0+0:vgprValuB_X0_I0+8+0+0+1], v[vgprValuA_X0_I0+12+0+0:vgprValuA_X0_I0+12+0+0+1], a[152:155]
/*  mfmaIndex:39  */
/* localReadsVacancy: latencyLeft 2 */
_ds_load_b64 v[vgprValuA_X3_I0_D6+0:vgprValuA_X3_I0_D6+0+1], v[vgprLocalReadAddrA] offset:26112 // L -> Reg lro=24576 swapByteOffset=0 ti=256 vIdx=0 rIdx=6 oIdx=0 buffer=3 iui=0
v_mfma_f32_16x16x32_bf8_fp8 a[156+0:159+0], v[vgprValuB_X0_I0+8+0+0:vgprValuB_X0_I0+8+0+0+1], v[vgprValuA_X0_I0+14+0+0:vgprValuA_X0_I0+14+0+0+1], a[156:159]
/*  mfmaIndex:40  */
/* localReadsVacancy: latencyLeft 2 */
_ds_load_b64 v[vgprValuA_X3_I0_D7+0:vgprValuA_X3_I0_D7+0+1], v[vgprLocalReadAddrA] offset:26368 // L -> Reg lro=24576 swapByteOffset=0 ti=256 vIdx=0 rIdx=7 oIdx=0 buffer=3 iui=0
v_mfma_f32_16x16x32_bf8_fp8 a[188+0:191+0], v[vgprValuB_X0_I0+10+0+0:vgprValuB_X0_I0+10+0+0+1], v[vgprValuA_X0_I0+14+0+0:vgprValuA_X0_I0+14+0+0+1], a[188:191]
/*  mfmaIndex:41  */
/* localReadsVacancy: latencyLeft 2 */
_ds_load_b64 v[vgprValuB_X3_I0_D0+0:vgprValuB_X3_I0_D0+0+1], v[vgprLocalReadAddrB] offset:24576 // L -> Reg lro=24576 swapByteOffset=0 ti=256 vIdx=0 rIdx=0 oIdx=0 buffer=3 iui=0
v_mfma_f32_16x16x32_bf8_fp8 a[184+0:187+0], v[vgprValuB_X0_I0+10+0+0:vgprValuB_X0_I0+10+0+0+1], v[vgprValuA_X0_I0+12+0+0:vgprValuA_X0_I0+12+0+0+1], a[184:187]
/*  mfmaIndex:42  */
/* localReadsVacancy: latencyLeft 2 */
_ds_load_b64 v[vgprValuB_X3_I0_D1+0:vgprValuB_X3_I0_D1+0+1], v[vgprLocalReadAddrB] offset:24832 // L -> Reg lro=24576 swapByteOffset=0 ti=256 vIdx=0 rIdx=1 oIdx=0 buffer=3 iui=0
v_mfma_f32_16x16x32_bf8_fp8 a[180+0:183+0], v[vgprValuB_X0_I0+10+0+0:vgprValuB_X0_I0+10+0+0+1], v[vgprValuA_X0_I0+10+0+0:vgprValuA_X0_I0+10+0+0+1], a[180:183]
/*  mfmaIndex:43  */
/* localReadsVacancy: latencyLeft 2 */
_ds_load_b64 v[vgprValuB_X3_I0_D2+0:vgprValuB_X3_I0_D2+0+1], v[vgprLocalReadAddrB] offset:25088 // L -> Reg lro=24576 swapByteOffset=0 ti=256 vIdx=0 rIdx=2 oIdx=0 buffer=3 iui=0
v_mfma_f32_16x16x32_bf8_fp8 a[176+0:179+0], v[vgprValuB_X0_I0+10+0+0:vgprValuB_X0_I0+10+0+0+1], v[vgprValuA_X0_I0+8+0+0:vgprValuA_X0_I0+8+0+0+1], a[176:179]
/*  mfmaIndex:44  */
/* localReadsVacancy: latencyLeft 2 */
_ds_load_b64 v[vgprValuB_X3_I0_D3+0:vgprValuB_X3_I0_D3+0+1], v[vgprLocalReadAddrB] offset:25344 // L -> Reg lro=24576 swapByteOffset=0 ti=256 vIdx=0 rIdx=3 oIdx=0 buffer=3 iui=0
v_mfma_f32_16x16x32_bf8_fp8 a[172+0:175+0], v[vgprValuB_X0_I0+10+0+0:vgprValuB_X0_I0+10+0+0+1], v[vgprValuA_X0_I0+6+0+0:vgprValuA_X0_I0+6+0+0+1], a[172:175]
/*  mfmaIndex:45  */
/* localReadsVacancy: latencyLeft 2 */
_ds_load_b64 v[vgprValuB_X3_I0_D4+0:vgprValuB_X3_I0_D4+0+1], v[vgprLocalReadAddrB] offset:25600 // L -> Reg lro=24576 swapByteOffset=0 ti=256 vIdx=0 rIdx=4 oIdx=0 buffer=3 iui=0
v_mfma_f32_16x16x32_bf8_fp8 a[168+0:171+0], v[vgprValuB_X0_I0+10+0+0:vgprValuB_X0_I0+10+0+0+1], v[vgprValuA_X0_I0+4+0+0:vgprValuA_X0_I0+4+0+0+1], a[168:171]
/*  mfmaIndex:46  */
/* localReadsVacancy: latencyLeft 2 */
_ds_load_b64 v[vgprValuB_X3_I0_D5+0:vgprValuB_X3_I0_D5+0+1], v[vgprLocalReadAddrB] offset:25856 // L -> Reg lro=24576 swapByteOffset=0 ti=256 vIdx=0 rIdx=5 oIdx=0 buffer=3 iui=0
v_mfma_f32_16x16x32_bf8_fp8 a[164+0:167+0], v[vgprValuB_X0_I0+10+0+0:vgprValuB_X0_I0+10+0+0+1], v[vgprValuA_X0_I0+2+0+0:vgprValuA_X0_I0+2+0+0+1], a[164:167]
/*  mfmaIndex:47  */
/* localReadsVacancy: latencyLeft 2 */
_ds_load_b64 v[vgprValuB_X3_I0_D6+0:vgprValuB_X3_I0_D6+0+1], v[vgprLocalReadAddrB] offset:26112 // L -> Reg lro=24576 swapByteOffset=0 ti=256 vIdx=0 rIdx=6 oIdx=0 buffer=3 iui=0
v_mfma_f32_16x16x32_bf8_fp8 a[160+0:163+0], v[vgprValuB_X0_I0+10+0+0:vgprValuB_X0_I0+10+0+0+1], v[vgprValuA_X0_I0+0+0+0:vgprValuA_X0_I0+0+0+0+1], a[160:163]
/*  mfmaIndex:48  */
/* localReadsVacancy: latencyLeft 2 */
_ds_load_b64 v[vgprValuB_X3_I0_D7+0:vgprValuB_X3_I0_D7+0+1], v[vgprLocalReadAddrB] offset:26368 // L -> Reg lro=24576 swapByteOffset=0 ti=256 vIdx=0 rIdx=7 oIdx=0 buffer=3 iui=0
v_mfma_f32_16x16x32_bf8_fp8 a[192+0:195+0], v[vgprValuB_X0_I0+12+0+0:vgprValuB_X0_I0+12+0+0+1], v[vgprValuA_X0_I0+0+0+0:vgprValuA_X0_I0+0+0+0+1], a[192:195]
/*  mfmaIndex:49  */
/* localReadsVacancy: latencyLeft 2 */
v_mfma_f32_16x16x32_bf8_fp8 a[196+0:199+0], v[vgprValuB_X0_I0+12+0+0:vgprValuB_X0_I0+12+0+0+1], v[vgprValuA_X0_I0+2+0+0:vgprValuA_X0_I0+2+0+0+1], a[196:199]
/*  mfmaIndex:50  */
/* localReadsVacancy: latencyLeft 2 */
	;; [unrolled: 3-line block ×15, first 2 shown]
v_mfma_f32_16x16x32_bf8_fp8 a[224+0:227+0], v[vgprValuB_X0_I0+14+0+0:vgprValuB_X0_I0+14+0+0+1], v[vgprValuA_X0_I0+0+0+0:vgprValuA_X0_I0+0+0+0+1], a[224:227]
/* numPrefetchIter=0 */
/* dataAtIterA=-1 numReadsIterA=1 skipReadsIterA=1 readsPerIterA=8 */
/* dataAtIterB=-1 numReadsIterB=1 skipReadsIterB=1 readsPerIterB=8 */


/* closeLoop loopL finalLoop=0 tailLoop=1 */
s_sub_i32 s[sgprLoopCounterL], s[sgprLoopCounterL], 0x20 // dec counterL (tailLoop)
s_add_u32 s[sgprOrigLoopCounter], s[sgprOrigLoopCounter], 0x20 // inc counterL
s_cmp_le_i32 s[sgprLoopCounterL], 0x0              // counterL<=0
s_cbranch_scc1 TailLoopEndL_OptNLL_19              // exit LoopL


/* iter 1 (last unrolled loop) */

/*  grEndMfmaIndex:0, lwStartMfmaIndex:229, lwEndMfmaIndex:229  */
/*  numMfmaForLR:21, barrierMfmaIndex:234, LocalWritePerMfma:0.090 */
/*  mfmaIndex:64  */
/* localReadsVacancy: latencyLeft 2 */
s_waitcnt lgkmcnt(15)                              // lgkmcnt=0 vmcnt=-1wait for prior local read local write old=16, new=16 newLW=0 newLR=0
/* pack scheduling: packAIdx:6, packBIdx:6 */
v_perm_b32 v[vgprValuA_X1_I0+0], v[vgprValuA_X1_I0_D1+0], v[vgprValuA_X1_I0_D0+0], s[sgprPackKForV0] // select K=01 for vector=0
v_perm_b32 v[vgprPackTemp], v[vgprValuA_X1_I0_D3+0], v[vgprValuA_X1_I0_D2+0], s[sgprPackKForV0] // select K=23 for vector=0
_v_lshl_or_b32 v[vgprValuA_X1_I0+0], v[vgprPackTemp], 0x10, v[vgprValuA_X1_I0+0] // pack two half Vgpr to one Vgpr
v_perm_b32 v[vgprValuA_X1_I0+1], v[vgprValuA_X1_I0_D5+0], v[vgprValuA_X1_I0_D4+0], s[sgprPackKForV0] // select K=45 for vector=0
v_perm_b32 v[vgprPackTemp], v[vgprValuA_X1_I0_D7+0], v[vgprValuA_X1_I0_D6+0], s[sgprPackKForV0] // select K=67 for vector=0
_v_lshl_or_b32 v[vgprValuA_X1_I0+1], v[vgprPackTemp], 0x10, v[vgprValuA_X1_I0+1] // pack two half Vgpr to one Vgpr
v_perm_b32 v[vgprValuB_X1_I0+0], v[vgprValuB_X1_I0_D1+0], v[vgprValuB_X1_I0_D0+0], s[sgprPackKForV0] // select K=01 for vector=0
v_perm_b32 v[vgprPackTemp], v[vgprValuB_X1_I0_D3+0], v[vgprValuB_X1_I0_D2+0], s[sgprPackKForV0] // select K=23 for vector=0
_v_lshl_or_b32 v[vgprValuB_X1_I0+0], v[vgprPackTemp], 0x10, v[vgprValuB_X1_I0+0] // pack two half Vgpr to one Vgpr
v_perm_b32 v[vgprValuB_X1_I0+1], v[vgprValuB_X1_I0_D5+0], v[vgprValuB_X1_I0_D4+0], s[sgprPackKForV0] // select K=45 for vector=0
v_perm_b32 v[vgprPackTemp], v[vgprValuB_X1_I0_D7+0], v[vgprValuB_X1_I0_D6+0], s[sgprPackKForV0] // select K=67 for vector=0
_v_lshl_or_b32 v[vgprValuB_X1_I0+1], v[vgprPackTemp], 0x10, v[vgprValuB_X1_I0+1] // pack two half Vgpr to one Vgpr
v_perm_b32 v[vgprValuA_X1_I0+2], v[vgprValuA_X1_I0_D1+0], v[vgprValuA_X1_I0_D0+0], s[sgprPackKForV1] // select K=01 for vector=1
v_perm_b32 v[vgprPackTemp], v[vgprValuA_X1_I0_D3+0], v[vgprValuA_X1_I0_D2+0], s[sgprPackKForV1] // select K=23 for vector=1
_v_lshl_or_b32 v[vgprValuA_X1_I0+2], v[vgprPackTemp], 0x10, v[vgprValuA_X1_I0+2] // pack two half Vgpr to one Vgpr
v_perm_b32 v[vgprValuA_X1_I0+3], v[vgprValuA_X1_I0_D5+0], v[vgprValuA_X1_I0_D4+0], s[sgprPackKForV1] // select K=45 for vector=1
v_perm_b32 v[vgprPackTemp], v[vgprValuA_X1_I0_D7+0], v[vgprValuA_X1_I0_D6+0], s[sgprPackKForV1] // select K=67 for vector=1
_v_lshl_or_b32 v[vgprValuA_X1_I0+3], v[vgprPackTemp], 0x10, v[vgprValuA_X1_I0+3] // pack two half Vgpr to one Vgpr
s_nop 1
v_mfma_f32_16x16x32_bf8_fp8 a[0+0:3+0], v[vgprValuB_X1_I0+0+0+0:vgprValuB_X1_I0+0+0+0+1], v[vgprValuA_X1_I0+0+0+0:vgprValuA_X1_I0+0+0+0+1], a[0:3]
/*  mfmaIndex:65  */
/* localReadsVacancy: latencyLeft 2 */
/* pack scheduling: packAIdx:12, packBIdx:6 */
v_perm_b32 v[vgprValuA_X1_I0+4], v[vgprValuA_X1_I0_D1+0], v[vgprValuA_X1_I0_D0+0], s[sgprPackKForV2] // select K=01 for vector=2
v_perm_b32 v[vgprPackTemp], v[vgprValuA_X1_I0_D3+0], v[vgprValuA_X1_I0_D2+0], s[sgprPackKForV2] // select K=23 for vector=2
_v_lshl_or_b32 v[vgprValuA_X1_I0+4], v[vgprPackTemp], 0x10, v[vgprValuA_X1_I0+4] // pack two half Vgpr to one Vgpr
v_perm_b32 v[vgprValuA_X1_I0+5], v[vgprValuA_X1_I0_D5+0], v[vgprValuA_X1_I0_D4+0], s[sgprPackKForV2] // select K=45 for vector=2
v_perm_b32 v[vgprPackTemp], v[vgprValuA_X1_I0_D7+0], v[vgprValuA_X1_I0_D6+0], s[sgprPackKForV2] // select K=67 for vector=2
_v_lshl_or_b32 v[vgprValuA_X1_I0+5], v[vgprPackTemp], 0x10, v[vgprValuA_X1_I0+5] // pack two half Vgpr to one Vgpr
v_mfma_f32_16x16x32_bf8_fp8 a[4+0:7+0], v[vgprValuB_X1_I0+0+0+0:vgprValuB_X1_I0+0+0+0+1], v[vgprValuA_X1_I0+2+0+0:vgprValuA_X1_I0+2+0+0+1], a[4:7]
/*  mfmaIndex:66  */
/* localReadsVacancy: latencyLeft 2 */
/* pack scheduling: packAIdx:18, packBIdx:6 */
v_perm_b32 v[vgprValuA_X1_I0+6], v[vgprValuA_X1_I0_D1+0], v[vgprValuA_X1_I0_D0+0], s[sgprPackKForV3] // select K=01 for vector=3
v_perm_b32 v[vgprPackTemp], v[vgprValuA_X1_I0_D3+0], v[vgprValuA_X1_I0_D2+0], s[sgprPackKForV3] // select K=23 for vector=3
_v_lshl_or_b32 v[vgprValuA_X1_I0+6], v[vgprPackTemp], 0x10, v[vgprValuA_X1_I0+6] // pack two half Vgpr to one Vgpr
v_perm_b32 v[vgprValuA_X1_I0+7], v[vgprValuA_X1_I0_D5+0], v[vgprValuA_X1_I0_D4+0], s[sgprPackKForV3] // select K=45 for vector=3
v_perm_b32 v[vgprPackTemp], v[vgprValuA_X1_I0_D7+0], v[vgprValuA_X1_I0_D6+0], s[sgprPackKForV3] // select K=67 for vector=3
_v_lshl_or_b32 v[vgprValuA_X1_I0+7], v[vgprPackTemp], 0x10, v[vgprValuA_X1_I0+7] // pack two half Vgpr to one Vgpr
v_mfma_f32_16x16x32_bf8_fp8 a[8+0:11+0], v[vgprValuB_X1_I0+0+0+0:vgprValuB_X1_I0+0+0+0+1], v[vgprValuA_X1_I0+4+0+0:vgprValuA_X1_I0+4+0+0+1], a[8:11]
/*  mfmaIndex:67  */
/* localReadsVacancy: latencyLeft 2 */
/* pack scheduling: packAIdx:24, packBIdx:6 */
v_perm_b32 v[vgprValuA_X1_I0+8], v[vgprValuA_X1_I0_D1+1], v[vgprValuA_X1_I0_D0+1], s[sgprPackKForV0] // select K=01 for vector=0
v_perm_b32 v[vgprPackTemp], v[vgprValuA_X1_I0_D3+1], v[vgprValuA_X1_I0_D2+1], s[sgprPackKForV0] // select K=23 for vector=0
_v_lshl_or_b32 v[vgprValuA_X1_I0+8], v[vgprPackTemp], 0x10, v[vgprValuA_X1_I0+8] // pack two half Vgpr to one Vgpr
v_perm_b32 v[vgprValuA_X1_I0+9], v[vgprValuA_X1_I0_D5+1], v[vgprValuA_X1_I0_D4+1], s[sgprPackKForV0] // select K=45 for vector=0
v_perm_b32 v[vgprPackTemp], v[vgprValuA_X1_I0_D7+1], v[vgprValuA_X1_I0_D6+1], s[sgprPackKForV0] // select K=67 for vector=0
_v_lshl_or_b32 v[vgprValuA_X1_I0+9], v[vgprPackTemp], 0x10, v[vgprValuA_X1_I0+9] // pack two half Vgpr to one Vgpr
v_mfma_f32_16x16x32_bf8_fp8 a[12+0:15+0], v[vgprValuB_X1_I0+0+0+0:vgprValuB_X1_I0+0+0+0+1], v[vgprValuA_X1_I0+6+0+0:vgprValuA_X1_I0+6+0+0+1], a[12:15]
/*  mfmaIndex:68  */
/* localReadsVacancy: latencyLeft 2 */
/* pack scheduling: packAIdx:30, packBIdx:6 */
v_perm_b32 v[vgprValuA_X1_I0+10], v[vgprValuA_X1_I0_D1+1], v[vgprValuA_X1_I0_D0+1], s[sgprPackKForV1] // select K=01 for vector=1
v_perm_b32 v[vgprPackTemp], v[vgprValuA_X1_I0_D3+1], v[vgprValuA_X1_I0_D2+1], s[sgprPackKForV1] // select K=23 for vector=1
_v_lshl_or_b32 v[vgprValuA_X1_I0+10], v[vgprPackTemp], 0x10, v[vgprValuA_X1_I0+10] // pack two half Vgpr to one Vgpr
v_perm_b32 v[vgprValuA_X1_I0+11], v[vgprValuA_X1_I0_D5+1], v[vgprValuA_X1_I0_D4+1], s[sgprPackKForV1] // select K=45 for vector=1
v_perm_b32 v[vgprPackTemp], v[vgprValuA_X1_I0_D7+1], v[vgprValuA_X1_I0_D6+1], s[sgprPackKForV1] // select K=67 for vector=1
_v_lshl_or_b32 v[vgprValuA_X1_I0+11], v[vgprPackTemp], 0x10, v[vgprValuA_X1_I0+11] // pack two half Vgpr to one Vgpr
v_mfma_f32_16x16x32_bf8_fp8 a[16+0:19+0], v[vgprValuB_X1_I0+0+0+0:vgprValuB_X1_I0+0+0+0+1], v[vgprValuA_X1_I0+8+0+0:vgprValuA_X1_I0+8+0+0+1], a[16:19]
/*  mfmaIndex:69  */
/* localReadsVacancy: latencyLeft 2 */
/* pack scheduling: packAIdx:36, packBIdx:6 */
v_perm_b32 v[vgprValuA_X1_I0+12], v[vgprValuA_X1_I0_D1+1], v[vgprValuA_X1_I0_D0+1], s[sgprPackKForV2] // select K=01 for vector=2
v_perm_b32 v[vgprPackTemp], v[vgprValuA_X1_I0_D3+1], v[vgprValuA_X1_I0_D2+1], s[sgprPackKForV2] // select K=23 for vector=2
_v_lshl_or_b32 v[vgprValuA_X1_I0+12], v[vgprPackTemp], 0x10, v[vgprValuA_X1_I0+12] // pack two half Vgpr to one Vgpr
v_perm_b32 v[vgprValuA_X1_I0+13], v[vgprValuA_X1_I0_D5+1], v[vgprValuA_X1_I0_D4+1], s[sgprPackKForV2] // select K=45 for vector=2
v_perm_b32 v[vgprPackTemp], v[vgprValuA_X1_I0_D7+1], v[vgprValuA_X1_I0_D6+1], s[sgprPackKForV2] // select K=67 for vector=2
_v_lshl_or_b32 v[vgprValuA_X1_I0+13], v[vgprPackTemp], 0x10, v[vgprValuA_X1_I0+13] // pack two half Vgpr to one Vgpr
v_mfma_f32_16x16x32_bf8_fp8 a[20+0:23+0], v[vgprValuB_X1_I0+0+0+0:vgprValuB_X1_I0+0+0+0+1], v[vgprValuA_X1_I0+10+0+0:vgprValuA_X1_I0+10+0+0+1], a[20:23]
/*  mfmaIndex:70  */
/* localReadsVacancy: latencyLeft 2 */
/* pack scheduling: packAIdx:42, packBIdx:6 */
v_perm_b32 v[vgprValuA_X1_I0+14], v[vgprValuA_X1_I0_D1+1], v[vgprValuA_X1_I0_D0+1], s[sgprPackKForV3] // select K=01 for vector=3
v_perm_b32 v[vgprPackTemp], v[vgprValuA_X1_I0_D3+1], v[vgprValuA_X1_I0_D2+1], s[sgprPackKForV3] // select K=23 for vector=3
_v_lshl_or_b32 v[vgprValuA_X1_I0+14], v[vgprPackTemp], 0x10, v[vgprValuA_X1_I0+14] // pack two half Vgpr to one Vgpr
v_perm_b32 v[vgprValuA_X1_I0+15], v[vgprValuA_X1_I0_D5+1], v[vgprValuA_X1_I0_D4+1], s[sgprPackKForV3] // select K=45 for vector=3
v_perm_b32 v[vgprPackTemp], v[vgprValuA_X1_I0_D7+1], v[vgprValuA_X1_I0_D6+1], s[sgprPackKForV3] // select K=67 for vector=3
_v_lshl_or_b32 v[vgprValuA_X1_I0+15], v[vgprPackTemp], 0x10, v[vgprValuA_X1_I0+15] // pack two half Vgpr to one Vgpr
v_mfma_f32_16x16x32_bf8_fp8 a[24+0:27+0], v[vgprValuB_X1_I0+0+0+0:vgprValuB_X1_I0+0+0+0+1], v[vgprValuA_X1_I0+12+0+0:vgprValuA_X1_I0+12+0+0+1], a[24:27]
/*  mfmaIndex:71  */
/* localReadsVacancy: latencyLeft 2 */
/* pack scheduling: packAIdx:48, packBIdx:6 */
v_perm_b32 v[vgprValuB_X1_I0+2], v[vgprValuB_X1_I0_D1+0], v[vgprValuB_X1_I0_D0+0], s[sgprPackKForV1] // select K=01 for vector=1
v_perm_b32 v[vgprPackTemp], v[vgprValuB_X1_I0_D3+0], v[vgprValuB_X1_I0_D2+0], s[sgprPackKForV1] // select K=23 for vector=1
_v_lshl_or_b32 v[vgprValuB_X1_I0+2], v[vgprPackTemp], 0x10, v[vgprValuB_X1_I0+2] // pack two half Vgpr to one Vgpr
v_perm_b32 v[vgprValuB_X1_I0+3], v[vgprValuB_X1_I0_D5+0], v[vgprValuB_X1_I0_D4+0], s[sgprPackKForV1] // select K=45 for vector=1
v_perm_b32 v[vgprPackTemp], v[vgprValuB_X1_I0_D7+0], v[vgprValuB_X1_I0_D6+0], s[sgprPackKForV1] // select K=67 for vector=1
_v_lshl_or_b32 v[vgprValuB_X1_I0+3], v[vgprPackTemp], 0x10, v[vgprValuB_X1_I0+3] // pack two half Vgpr to one Vgpr
v_mfma_f32_16x16x32_bf8_fp8 a[28+0:31+0], v[vgprValuB_X1_I0+0+0+0:vgprValuB_X1_I0+0+0+0+1], v[vgprValuA_X1_I0+14+0+0:vgprValuA_X1_I0+14+0+0+1], a[28:31]
/*  mfmaIndex:72  */
/* localReadsVacancy: latencyLeft 2 */
/* pack scheduling: packAIdx:48, packBIdx:12 */
v_perm_b32 v[vgprValuB_X1_I0+4], v[vgprValuB_X1_I0_D1+0], v[vgprValuB_X1_I0_D0+0], s[sgprPackKForV2] // select K=01 for vector=2
v_perm_b32 v[vgprPackTemp], v[vgprValuB_X1_I0_D3+0], v[vgprValuB_X1_I0_D2+0], s[sgprPackKForV2] // select K=23 for vector=2
_v_lshl_or_b32 v[vgprValuB_X1_I0+4], v[vgprPackTemp], 0x10, v[vgprValuB_X1_I0+4] // pack two half Vgpr to one Vgpr
v_perm_b32 v[vgprValuB_X1_I0+5], v[vgprValuB_X1_I0_D5+0], v[vgprValuB_X1_I0_D4+0], s[sgprPackKForV2] // select K=45 for vector=2
v_perm_b32 v[vgprPackTemp], v[vgprValuB_X1_I0_D7+0], v[vgprValuB_X1_I0_D6+0], s[sgprPackKForV2] // select K=67 for vector=2
_v_lshl_or_b32 v[vgprValuB_X1_I0+5], v[vgprPackTemp], 0x10, v[vgprValuB_X1_I0+5] // pack two half Vgpr to one Vgpr
v_mfma_f32_16x16x32_bf8_fp8 a[60+0:63+0], v[vgprValuB_X1_I0+2+0+0:vgprValuB_X1_I0+2+0+0+1], v[vgprValuA_X1_I0+14+0+0:vgprValuA_X1_I0+14+0+0+1], a[60:63]
/*  mfmaIndex:73  */
/* localReadsVacancy: latencyLeft 2 */
/* pack scheduling: packAIdx:48, packBIdx:12 */
v_perm_b32 v[vgprValuB_X1_I0+6], v[vgprValuB_X1_I0_D1+0], v[vgprValuB_X1_I0_D0+0], s[sgprPackKForV3] // select K=01 for vector=3
v_perm_b32 v[vgprPackTemp], v[vgprValuB_X1_I0_D3+0], v[vgprValuB_X1_I0_D2+0], s[sgprPackKForV3] // select K=23 for vector=3
_v_lshl_or_b32 v[vgprValuB_X1_I0+6], v[vgprPackTemp], 0x10, v[vgprValuB_X1_I0+6] // pack two half Vgpr to one Vgpr
v_perm_b32 v[vgprValuB_X1_I0+7], v[vgprValuB_X1_I0_D5+0], v[vgprValuB_X1_I0_D4+0], s[sgprPackKForV3] // select K=45 for vector=3
v_perm_b32 v[vgprPackTemp], v[vgprValuB_X1_I0_D7+0], v[vgprValuB_X1_I0_D6+0], s[sgprPackKForV3] // select K=67 for vector=3
_v_lshl_or_b32 v[vgprValuB_X1_I0+7], v[vgprPackTemp], 0x10, v[vgprValuB_X1_I0+7] // pack two half Vgpr to one Vgpr
v_mfma_f32_16x16x32_bf8_fp8 a[56+0:59+0], v[vgprValuB_X1_I0+2+0+0:vgprValuB_X1_I0+2+0+0+1], v[vgprValuA_X1_I0+12+0+0:vgprValuA_X1_I0+12+0+0+1], a[56:59]
/*  mfmaIndex:74  */
/* localReadsVacancy: latencyLeft 2 */
/* pack scheduling: packAIdx:48, packBIdx:12 */
v_perm_b32 v[vgprValuB_X1_I0+8], v[vgprValuB_X1_I0_D1+1], v[vgprValuB_X1_I0_D0+1], s[sgprPackKForV0] // select K=01 for vector=0
v_perm_b32 v[vgprPackTemp], v[vgprValuB_X1_I0_D3+1], v[vgprValuB_X1_I0_D2+1], s[sgprPackKForV0] // select K=23 for vector=0
_v_lshl_or_b32 v[vgprValuB_X1_I0+8], v[vgprPackTemp], 0x10, v[vgprValuB_X1_I0+8] // pack two half Vgpr to one Vgpr
v_perm_b32 v[vgprValuB_X1_I0+9], v[vgprValuB_X1_I0_D5+1], v[vgprValuB_X1_I0_D4+1], s[sgprPackKForV0] // select K=45 for vector=0
v_perm_b32 v[vgprPackTemp], v[vgprValuB_X1_I0_D7+1], v[vgprValuB_X1_I0_D6+1], s[sgprPackKForV0] // select K=67 for vector=0
_v_lshl_or_b32 v[vgprValuB_X1_I0+9], v[vgprPackTemp], 0x10, v[vgprValuB_X1_I0+9] // pack two half Vgpr to one Vgpr
v_mfma_f32_16x16x32_bf8_fp8 a[52+0:55+0], v[vgprValuB_X1_I0+2+0+0:vgprValuB_X1_I0+2+0+0+1], v[vgprValuA_X1_I0+10+0+0:vgprValuA_X1_I0+10+0+0+1], a[52:55]
/*  mfmaIndex:75  */
/* localReadsVacancy: latencyLeft 2 */
/* pack scheduling: packAIdx:48, packBIdx:12 */
v_perm_b32 v[vgprValuB_X1_I0+10], v[vgprValuB_X1_I0_D1+1], v[vgprValuB_X1_I0_D0+1], s[sgprPackKForV1] // select K=01 for vector=1
v_perm_b32 v[vgprPackTemp], v[vgprValuB_X1_I0_D3+1], v[vgprValuB_X1_I0_D2+1], s[sgprPackKForV1] // select K=23 for vector=1
_v_lshl_or_b32 v[vgprValuB_X1_I0+10], v[vgprPackTemp], 0x10, v[vgprValuB_X1_I0+10] // pack two half Vgpr to one Vgpr
v_perm_b32 v[vgprValuB_X1_I0+11], v[vgprValuB_X1_I0_D5+1], v[vgprValuB_X1_I0_D4+1], s[sgprPackKForV1] // select K=45 for vector=1
v_perm_b32 v[vgprPackTemp], v[vgprValuB_X1_I0_D7+1], v[vgprValuB_X1_I0_D6+1], s[sgprPackKForV1] // select K=67 for vector=1
_v_lshl_or_b32 v[vgprValuB_X1_I0+11], v[vgprPackTemp], 0x10, v[vgprValuB_X1_I0+11] // pack two half Vgpr to one Vgpr
v_mfma_f32_16x16x32_bf8_fp8 a[48+0:51+0], v[vgprValuB_X1_I0+2+0+0:vgprValuB_X1_I0+2+0+0+1], v[vgprValuA_X1_I0+8+0+0:vgprValuA_X1_I0+8+0+0+1], a[48:51]
/*  mfmaIndex:76  */
/* localReadsVacancy: latencyLeft 2 */
/* pack scheduling: packAIdx:48, packBIdx:12 */
v_perm_b32 v[vgprValuB_X1_I0+12], v[vgprValuB_X1_I0_D1+1], v[vgprValuB_X1_I0_D0+1], s[sgprPackKForV2] // select K=01 for vector=2
v_perm_b32 v[vgprPackTemp], v[vgprValuB_X1_I0_D3+1], v[vgprValuB_X1_I0_D2+1], s[sgprPackKForV2] // select K=23 for vector=2
_v_lshl_or_b32 v[vgprValuB_X1_I0+12], v[vgprPackTemp], 0x10, v[vgprValuB_X1_I0+12] // pack two half Vgpr to one Vgpr
v_perm_b32 v[vgprValuB_X1_I0+13], v[vgprValuB_X1_I0_D5+1], v[vgprValuB_X1_I0_D4+1], s[sgprPackKForV2] // select K=45 for vector=2
v_perm_b32 v[vgprPackTemp], v[vgprValuB_X1_I0_D7+1], v[vgprValuB_X1_I0_D6+1], s[sgprPackKForV2] // select K=67 for vector=2
_v_lshl_or_b32 v[vgprValuB_X1_I0+13], v[vgprPackTemp], 0x10, v[vgprValuB_X1_I0+13] // pack two half Vgpr to one Vgpr
v_mfma_f32_16x16x32_bf8_fp8 a[44+0:47+0], v[vgprValuB_X1_I0+2+0+0:vgprValuB_X1_I0+2+0+0+1], v[vgprValuA_X1_I0+6+0+0:vgprValuA_X1_I0+6+0+0+1], a[44:47]
/*  mfmaIndex:77  */
/* localReadsVacancy: latencyLeft 2 */
/* pack scheduling: packAIdx:48, packBIdx:12 */
v_perm_b32 v[vgprValuB_X1_I0+14], v[vgprValuB_X1_I0_D1+1], v[vgprValuB_X1_I0_D0+1], s[sgprPackKForV3] // select K=01 for vector=3
v_perm_b32 v[vgprPackTemp], v[vgprValuB_X1_I0_D3+1], v[vgprValuB_X1_I0_D2+1], s[sgprPackKForV3] // select K=23 for vector=3
_v_lshl_or_b32 v[vgprValuB_X1_I0+14], v[vgprPackTemp], 0x10, v[vgprValuB_X1_I0+14] // pack two half Vgpr to one Vgpr
v_perm_b32 v[vgprValuB_X1_I0+15], v[vgprValuB_X1_I0_D5+1], v[vgprValuB_X1_I0_D4+1], s[sgprPackKForV3] // select K=45 for vector=3
v_perm_b32 v[vgprPackTemp], v[vgprValuB_X1_I0_D7+1], v[vgprValuB_X1_I0_D6+1], s[sgprPackKForV3] // select K=67 for vector=3
_v_lshl_or_b32 v[vgprValuB_X1_I0+15], v[vgprPackTemp], 0x10, v[vgprValuB_X1_I0+15] // pack two half Vgpr to one Vgpr
v_mfma_f32_16x16x32_bf8_fp8 a[40+0:43+0], v[vgprValuB_X1_I0+2+0+0:vgprValuB_X1_I0+2+0+0+1], v[vgprValuA_X1_I0+4+0+0:vgprValuA_X1_I0+4+0+0+1], a[40:43]
/*  mfmaIndex:78  */
/* localReadsVacancy: latencyLeft 2 */
v_mfma_f32_16x16x32_bf8_fp8 a[36+0:39+0], v[vgprValuB_X1_I0+2+0+0:vgprValuB_X1_I0+2+0+0+1], v[vgprValuA_X1_I0+2+0+0:vgprValuA_X1_I0+2+0+0+1], a[36:39]
/*  mfmaIndex:79  */
/* localReadsVacancy: latencyLeft 2 */
	;; [unrolled: 3-line block ×50, first 2 shown]
v_mfma_f32_16x16x32_bf8_fp8 a[224+0:227+0], v[vgprValuB_X1_I0+14+0+0:vgprValuB_X1_I0+14+0+0+1], v[vgprValuA_X1_I0+0+0+0:vgprValuA_X1_I0+0+0+0+1], a[224:227]
/* numPrefetchIter=0 */
/* dataAtIterA=0 numReadsIterA=2 skipReadsIterA=1 readsPerIterA=8 */
/* dataAtIterB=0 numReadsIterB=2 skipReadsIterB=1 readsPerIterB=8 */


/* closeLoop loopL finalLoop=0 tailLoop=1 */
s_sub_i32 s[sgprLoopCounterL], s[sgprLoopCounterL], 0x20 // dec counterL (tailLoop)
s_add_u32 s[sgprOrigLoopCounter], s[sgprOrigLoopCounter], 0x20 // inc counterL
s_cmp_le_i32 s[sgprLoopCounterL], 0x0              // counterL<=0
s_cbranch_scc1 TailLoopEndL_OptNLL_19              // exit LoopL


/* iter 2 (last unrolled loop) */

/*  grEndMfmaIndex:0, lwStartMfmaIndex:229, lwEndMfmaIndex:229  */
/*  numMfmaForLR:21, barrierMfmaIndex:234, LocalWritePerMfma:0.090 */
/*  mfmaIndex:128  */
/* localReadsVacancy: latencyLeft 2 */
s_waitcnt lgkmcnt(0)                               // lgkmcnt=0 vmcnt=-1wait for prior local read local write old=0, new=0 newLW=0 newLR=0
/* pack scheduling: packAIdx:6, packBIdx:6 */
v_perm_b32 v[vgprValuA_X2_I0+0], v[vgprValuA_X2_I0_D1+0], v[vgprValuA_X2_I0_D0+0], s[sgprPackKForV0] // select K=01 for vector=0
v_perm_b32 v[vgprPackTemp], v[vgprValuA_X2_I0_D3+0], v[vgprValuA_X2_I0_D2+0], s[sgprPackKForV0] // select K=23 for vector=0
_v_lshl_or_b32 v[vgprValuA_X2_I0+0], v[vgprPackTemp], 0x10, v[vgprValuA_X2_I0+0] // pack two half Vgpr to one Vgpr
v_perm_b32 v[vgprValuA_X2_I0+1], v[vgprValuA_X2_I0_D5+0], v[vgprValuA_X2_I0_D4+0], s[sgprPackKForV0] // select K=45 for vector=0
v_perm_b32 v[vgprPackTemp], v[vgprValuA_X2_I0_D7+0], v[vgprValuA_X2_I0_D6+0], s[sgprPackKForV0] // select K=67 for vector=0
_v_lshl_or_b32 v[vgprValuA_X2_I0+1], v[vgprPackTemp], 0x10, v[vgprValuA_X2_I0+1] // pack two half Vgpr to one Vgpr
v_perm_b32 v[vgprValuB_X2_I0+0], v[vgprValuB_X2_I0_D1+0], v[vgprValuB_X2_I0_D0+0], s[sgprPackKForV0] // select K=01 for vector=0
v_perm_b32 v[vgprPackTemp], v[vgprValuB_X2_I0_D3+0], v[vgprValuB_X2_I0_D2+0], s[sgprPackKForV0] // select K=23 for vector=0
_v_lshl_or_b32 v[vgprValuB_X2_I0+0], v[vgprPackTemp], 0x10, v[vgprValuB_X2_I0+0] // pack two half Vgpr to one Vgpr
v_perm_b32 v[vgprValuB_X2_I0+1], v[vgprValuB_X2_I0_D5+0], v[vgprValuB_X2_I0_D4+0], s[sgprPackKForV0] // select K=45 for vector=0
v_perm_b32 v[vgprPackTemp], v[vgprValuB_X2_I0_D7+0], v[vgprValuB_X2_I0_D6+0], s[sgprPackKForV0] // select K=67 for vector=0
_v_lshl_or_b32 v[vgprValuB_X2_I0+1], v[vgprPackTemp], 0x10, v[vgprValuB_X2_I0+1] // pack two half Vgpr to one Vgpr
v_perm_b32 v[vgprValuA_X2_I0+2], v[vgprValuA_X2_I0_D1+0], v[vgprValuA_X2_I0_D0+0], s[sgprPackKForV1] // select K=01 for vector=1
v_perm_b32 v[vgprPackTemp], v[vgprValuA_X2_I0_D3+0], v[vgprValuA_X2_I0_D2+0], s[sgprPackKForV1] // select K=23 for vector=1
_v_lshl_or_b32 v[vgprValuA_X2_I0+2], v[vgprPackTemp], 0x10, v[vgprValuA_X2_I0+2] // pack two half Vgpr to one Vgpr
v_perm_b32 v[vgprValuA_X2_I0+3], v[vgprValuA_X2_I0_D5+0], v[vgprValuA_X2_I0_D4+0], s[sgprPackKForV1] // select K=45 for vector=1
v_perm_b32 v[vgprPackTemp], v[vgprValuA_X2_I0_D7+0], v[vgprValuA_X2_I0_D6+0], s[sgprPackKForV1] // select K=67 for vector=1
_v_lshl_or_b32 v[vgprValuA_X2_I0+3], v[vgprPackTemp], 0x10, v[vgprValuA_X2_I0+3] // pack two half Vgpr to one Vgpr
s_nop 1
v_mfma_f32_16x16x32_bf8_fp8 a[0+0:3+0], v[vgprValuB_X2_I0+0+0+0:vgprValuB_X2_I0+0+0+0+1], v[vgprValuA_X2_I0+0+0+0:vgprValuA_X2_I0+0+0+0+1], a[0:3]
/*  mfmaIndex:129  */
/* localReadsVacancy: latencyLeft 2 */
/* pack scheduling: packAIdx:12, packBIdx:6 */
v_perm_b32 v[vgprValuA_X2_I0+4], v[vgprValuA_X2_I0_D1+0], v[vgprValuA_X2_I0_D0+0], s[sgprPackKForV2] // select K=01 for vector=2
v_perm_b32 v[vgprPackTemp], v[vgprValuA_X2_I0_D3+0], v[vgprValuA_X2_I0_D2+0], s[sgprPackKForV2] // select K=23 for vector=2
_v_lshl_or_b32 v[vgprValuA_X2_I0+4], v[vgprPackTemp], 0x10, v[vgprValuA_X2_I0+4] // pack two half Vgpr to one Vgpr
v_perm_b32 v[vgprValuA_X2_I0+5], v[vgprValuA_X2_I0_D5+0], v[vgprValuA_X2_I0_D4+0], s[sgprPackKForV2] // select K=45 for vector=2
v_perm_b32 v[vgprPackTemp], v[vgprValuA_X2_I0_D7+0], v[vgprValuA_X2_I0_D6+0], s[sgprPackKForV2] // select K=67 for vector=2
_v_lshl_or_b32 v[vgprValuA_X2_I0+5], v[vgprPackTemp], 0x10, v[vgprValuA_X2_I0+5] // pack two half Vgpr to one Vgpr
v_mfma_f32_16x16x32_bf8_fp8 a[4+0:7+0], v[vgprValuB_X2_I0+0+0+0:vgprValuB_X2_I0+0+0+0+1], v[vgprValuA_X2_I0+2+0+0:vgprValuA_X2_I0+2+0+0+1], a[4:7]
/*  mfmaIndex:130  */
/* localReadsVacancy: latencyLeft 2 */
/* pack scheduling: packAIdx:18, packBIdx:6 */
v_perm_b32 v[vgprValuA_X2_I0+6], v[vgprValuA_X2_I0_D1+0], v[vgprValuA_X2_I0_D0+0], s[sgprPackKForV3] // select K=01 for vector=3
v_perm_b32 v[vgprPackTemp], v[vgprValuA_X2_I0_D3+0], v[vgprValuA_X2_I0_D2+0], s[sgprPackKForV3] // select K=23 for vector=3
_v_lshl_or_b32 v[vgprValuA_X2_I0+6], v[vgprPackTemp], 0x10, v[vgprValuA_X2_I0+6] // pack two half Vgpr to one Vgpr
v_perm_b32 v[vgprValuA_X2_I0+7], v[vgprValuA_X2_I0_D5+0], v[vgprValuA_X2_I0_D4+0], s[sgprPackKForV3] // select K=45 for vector=3
v_perm_b32 v[vgprPackTemp], v[vgprValuA_X2_I0_D7+0], v[vgprValuA_X2_I0_D6+0], s[sgprPackKForV3] // select K=67 for vector=3
_v_lshl_or_b32 v[vgprValuA_X2_I0+7], v[vgprPackTemp], 0x10, v[vgprValuA_X2_I0+7] // pack two half Vgpr to one Vgpr
v_mfma_f32_16x16x32_bf8_fp8 a[8+0:11+0], v[vgprValuB_X2_I0+0+0+0:vgprValuB_X2_I0+0+0+0+1], v[vgprValuA_X2_I0+4+0+0:vgprValuA_X2_I0+4+0+0+1], a[8:11]
/*  mfmaIndex:131  */
/* localReadsVacancy: latencyLeft 2 */
/* pack scheduling: packAIdx:24, packBIdx:6 */
v_perm_b32 v[vgprValuA_X2_I0+8], v[vgprValuA_X2_I0_D1+1], v[vgprValuA_X2_I0_D0+1], s[sgprPackKForV0] // select K=01 for vector=0
v_perm_b32 v[vgprPackTemp], v[vgprValuA_X2_I0_D3+1], v[vgprValuA_X2_I0_D2+1], s[sgprPackKForV0] // select K=23 for vector=0
_v_lshl_or_b32 v[vgprValuA_X2_I0+8], v[vgprPackTemp], 0x10, v[vgprValuA_X2_I0+8] // pack two half Vgpr to one Vgpr
v_perm_b32 v[vgprValuA_X2_I0+9], v[vgprValuA_X2_I0_D5+1], v[vgprValuA_X2_I0_D4+1], s[sgprPackKForV0] // select K=45 for vector=0
v_perm_b32 v[vgprPackTemp], v[vgprValuA_X2_I0_D7+1], v[vgprValuA_X2_I0_D6+1], s[sgprPackKForV0] // select K=67 for vector=0
_v_lshl_or_b32 v[vgprValuA_X2_I0+9], v[vgprPackTemp], 0x10, v[vgprValuA_X2_I0+9] // pack two half Vgpr to one Vgpr
v_mfma_f32_16x16x32_bf8_fp8 a[12+0:15+0], v[vgprValuB_X2_I0+0+0+0:vgprValuB_X2_I0+0+0+0+1], v[vgprValuA_X2_I0+6+0+0:vgprValuA_X2_I0+6+0+0+1], a[12:15]
/*  mfmaIndex:132  */
/* localReadsVacancy: latencyLeft 2 */
/* pack scheduling: packAIdx:30, packBIdx:6 */
v_perm_b32 v[vgprValuA_X2_I0+10], v[vgprValuA_X2_I0_D1+1], v[vgprValuA_X2_I0_D0+1], s[sgprPackKForV1] // select K=01 for vector=1
v_perm_b32 v[vgprPackTemp], v[vgprValuA_X2_I0_D3+1], v[vgprValuA_X2_I0_D2+1], s[sgprPackKForV1] // select K=23 for vector=1
_v_lshl_or_b32 v[vgprValuA_X2_I0+10], v[vgprPackTemp], 0x10, v[vgprValuA_X2_I0+10] // pack two half Vgpr to one Vgpr
v_perm_b32 v[vgprValuA_X2_I0+11], v[vgprValuA_X2_I0_D5+1], v[vgprValuA_X2_I0_D4+1], s[sgprPackKForV1] // select K=45 for vector=1
v_perm_b32 v[vgprPackTemp], v[vgprValuA_X2_I0_D7+1], v[vgprValuA_X2_I0_D6+1], s[sgprPackKForV1] // select K=67 for vector=1
_v_lshl_or_b32 v[vgprValuA_X2_I0+11], v[vgprPackTemp], 0x10, v[vgprValuA_X2_I0+11] // pack two half Vgpr to one Vgpr
v_mfma_f32_16x16x32_bf8_fp8 a[16+0:19+0], v[vgprValuB_X2_I0+0+0+0:vgprValuB_X2_I0+0+0+0+1], v[vgprValuA_X2_I0+8+0+0:vgprValuA_X2_I0+8+0+0+1], a[16:19]
/*  mfmaIndex:133  */
/* localReadsVacancy: latencyLeft 2 */
/* pack scheduling: packAIdx:36, packBIdx:6 */
v_perm_b32 v[vgprValuA_X2_I0+12], v[vgprValuA_X2_I0_D1+1], v[vgprValuA_X2_I0_D0+1], s[sgprPackKForV2] // select K=01 for vector=2
v_perm_b32 v[vgprPackTemp], v[vgprValuA_X2_I0_D3+1], v[vgprValuA_X2_I0_D2+1], s[sgprPackKForV2] // select K=23 for vector=2
_v_lshl_or_b32 v[vgprValuA_X2_I0+12], v[vgprPackTemp], 0x10, v[vgprValuA_X2_I0+12] // pack two half Vgpr to one Vgpr
v_perm_b32 v[vgprValuA_X2_I0+13], v[vgprValuA_X2_I0_D5+1], v[vgprValuA_X2_I0_D4+1], s[sgprPackKForV2] // select K=45 for vector=2
v_perm_b32 v[vgprPackTemp], v[vgprValuA_X2_I0_D7+1], v[vgprValuA_X2_I0_D6+1], s[sgprPackKForV2] // select K=67 for vector=2
_v_lshl_or_b32 v[vgprValuA_X2_I0+13], v[vgprPackTemp], 0x10, v[vgprValuA_X2_I0+13] // pack two half Vgpr to one Vgpr
v_mfma_f32_16x16x32_bf8_fp8 a[20+0:23+0], v[vgprValuB_X2_I0+0+0+0:vgprValuB_X2_I0+0+0+0+1], v[vgprValuA_X2_I0+10+0+0:vgprValuA_X2_I0+10+0+0+1], a[20:23]
/*  mfmaIndex:134  */
/* localReadsVacancy: latencyLeft 2 */
/* pack scheduling: packAIdx:42, packBIdx:6 */
v_perm_b32 v[vgprValuA_X2_I0+14], v[vgprValuA_X2_I0_D1+1], v[vgprValuA_X2_I0_D0+1], s[sgprPackKForV3] // select K=01 for vector=3
v_perm_b32 v[vgprPackTemp], v[vgprValuA_X2_I0_D3+1], v[vgprValuA_X2_I0_D2+1], s[sgprPackKForV3] // select K=23 for vector=3
_v_lshl_or_b32 v[vgprValuA_X2_I0+14], v[vgprPackTemp], 0x10, v[vgprValuA_X2_I0+14] // pack two half Vgpr to one Vgpr
v_perm_b32 v[vgprValuA_X2_I0+15], v[vgprValuA_X2_I0_D5+1], v[vgprValuA_X2_I0_D4+1], s[sgprPackKForV3] // select K=45 for vector=3
v_perm_b32 v[vgprPackTemp], v[vgprValuA_X2_I0_D7+1], v[vgprValuA_X2_I0_D6+1], s[sgprPackKForV3] // select K=67 for vector=3
_v_lshl_or_b32 v[vgprValuA_X2_I0+15], v[vgprPackTemp], 0x10, v[vgprValuA_X2_I0+15] // pack two half Vgpr to one Vgpr
v_mfma_f32_16x16x32_bf8_fp8 a[24+0:27+0], v[vgprValuB_X2_I0+0+0+0:vgprValuB_X2_I0+0+0+0+1], v[vgprValuA_X2_I0+12+0+0:vgprValuA_X2_I0+12+0+0+1], a[24:27]
/*  mfmaIndex:135  */
/* localReadsVacancy: latencyLeft 2 */
/* pack scheduling: packAIdx:48, packBIdx:6 */
v_perm_b32 v[vgprValuB_X2_I0+2], v[vgprValuB_X2_I0_D1+0], v[vgprValuB_X2_I0_D0+0], s[sgprPackKForV1] // select K=01 for vector=1
v_perm_b32 v[vgprPackTemp], v[vgprValuB_X2_I0_D3+0], v[vgprValuB_X2_I0_D2+0], s[sgprPackKForV1] // select K=23 for vector=1
_v_lshl_or_b32 v[vgprValuB_X2_I0+2], v[vgprPackTemp], 0x10, v[vgprValuB_X2_I0+2] // pack two half Vgpr to one Vgpr
v_perm_b32 v[vgprValuB_X2_I0+3], v[vgprValuB_X2_I0_D5+0], v[vgprValuB_X2_I0_D4+0], s[sgprPackKForV1] // select K=45 for vector=1
v_perm_b32 v[vgprPackTemp], v[vgprValuB_X2_I0_D7+0], v[vgprValuB_X2_I0_D6+0], s[sgprPackKForV1] // select K=67 for vector=1
_v_lshl_or_b32 v[vgprValuB_X2_I0+3], v[vgprPackTemp], 0x10, v[vgprValuB_X2_I0+3] // pack two half Vgpr to one Vgpr
v_mfma_f32_16x16x32_bf8_fp8 a[28+0:31+0], v[vgprValuB_X2_I0+0+0+0:vgprValuB_X2_I0+0+0+0+1], v[vgprValuA_X2_I0+14+0+0:vgprValuA_X2_I0+14+0+0+1], a[28:31]
/*  mfmaIndex:136  */
/* localReadsVacancy: latencyLeft 2 */
/* pack scheduling: packAIdx:48, packBIdx:12 */
v_perm_b32 v[vgprValuB_X2_I0+4], v[vgprValuB_X2_I0_D1+0], v[vgprValuB_X2_I0_D0+0], s[sgprPackKForV2] // select K=01 for vector=2
v_perm_b32 v[vgprPackTemp], v[vgprValuB_X2_I0_D3+0], v[vgprValuB_X2_I0_D2+0], s[sgprPackKForV2] // select K=23 for vector=2
_v_lshl_or_b32 v[vgprValuB_X2_I0+4], v[vgprPackTemp], 0x10, v[vgprValuB_X2_I0+4] // pack two half Vgpr to one Vgpr
v_perm_b32 v[vgprValuB_X2_I0+5], v[vgprValuB_X2_I0_D5+0], v[vgprValuB_X2_I0_D4+0], s[sgprPackKForV2] // select K=45 for vector=2
v_perm_b32 v[vgprPackTemp], v[vgprValuB_X2_I0_D7+0], v[vgprValuB_X2_I0_D6+0], s[sgprPackKForV2] // select K=67 for vector=2
_v_lshl_or_b32 v[vgprValuB_X2_I0+5], v[vgprPackTemp], 0x10, v[vgprValuB_X2_I0+5] // pack two half Vgpr to one Vgpr
v_mfma_f32_16x16x32_bf8_fp8 a[60+0:63+0], v[vgprValuB_X2_I0+2+0+0:vgprValuB_X2_I0+2+0+0+1], v[vgprValuA_X2_I0+14+0+0:vgprValuA_X2_I0+14+0+0+1], a[60:63]
/*  mfmaIndex:137  */
/* localReadsVacancy: latencyLeft 2 */
/* pack scheduling: packAIdx:48, packBIdx:12 */
v_perm_b32 v[vgprValuB_X2_I0+6], v[vgprValuB_X2_I0_D1+0], v[vgprValuB_X2_I0_D0+0], s[sgprPackKForV3] // select K=01 for vector=3
v_perm_b32 v[vgprPackTemp], v[vgprValuB_X2_I0_D3+0], v[vgprValuB_X2_I0_D2+0], s[sgprPackKForV3] // select K=23 for vector=3
_v_lshl_or_b32 v[vgprValuB_X2_I0+6], v[vgprPackTemp], 0x10, v[vgprValuB_X2_I0+6] // pack two half Vgpr to one Vgpr
v_perm_b32 v[vgprValuB_X2_I0+7], v[vgprValuB_X2_I0_D5+0], v[vgprValuB_X2_I0_D4+0], s[sgprPackKForV3] // select K=45 for vector=3
v_perm_b32 v[vgprPackTemp], v[vgprValuB_X2_I0_D7+0], v[vgprValuB_X2_I0_D6+0], s[sgprPackKForV3] // select K=67 for vector=3
_v_lshl_or_b32 v[vgprValuB_X2_I0+7], v[vgprPackTemp], 0x10, v[vgprValuB_X2_I0+7] // pack two half Vgpr to one Vgpr
v_mfma_f32_16x16x32_bf8_fp8 a[56+0:59+0], v[vgprValuB_X2_I0+2+0+0:vgprValuB_X2_I0+2+0+0+1], v[vgprValuA_X2_I0+12+0+0:vgprValuA_X2_I0+12+0+0+1], a[56:59]
/*  mfmaIndex:138  */
/* localReadsVacancy: latencyLeft 2 */
/* pack scheduling: packAIdx:48, packBIdx:12 */
v_perm_b32 v[vgprValuB_X2_I0+8], v[vgprValuB_X2_I0_D1+1], v[vgprValuB_X2_I0_D0+1], s[sgprPackKForV0] // select K=01 for vector=0
v_perm_b32 v[vgprPackTemp], v[vgprValuB_X2_I0_D3+1], v[vgprValuB_X2_I0_D2+1], s[sgprPackKForV0] // select K=23 for vector=0
_v_lshl_or_b32 v[vgprValuB_X2_I0+8], v[vgprPackTemp], 0x10, v[vgprValuB_X2_I0+8] // pack two half Vgpr to one Vgpr
v_perm_b32 v[vgprValuB_X2_I0+9], v[vgprValuB_X2_I0_D5+1], v[vgprValuB_X2_I0_D4+1], s[sgprPackKForV0] // select K=45 for vector=0
v_perm_b32 v[vgprPackTemp], v[vgprValuB_X2_I0_D7+1], v[vgprValuB_X2_I0_D6+1], s[sgprPackKForV0] // select K=67 for vector=0
_v_lshl_or_b32 v[vgprValuB_X2_I0+9], v[vgprPackTemp], 0x10, v[vgprValuB_X2_I0+9] // pack two half Vgpr to one Vgpr
v_mfma_f32_16x16x32_bf8_fp8 a[52+0:55+0], v[vgprValuB_X2_I0+2+0+0:vgprValuB_X2_I0+2+0+0+1], v[vgprValuA_X2_I0+10+0+0:vgprValuA_X2_I0+10+0+0+1], a[52:55]
/*  mfmaIndex:139  */
/* localReadsVacancy: latencyLeft 2 */
/* pack scheduling: packAIdx:48, packBIdx:12 */
v_perm_b32 v[vgprValuB_X2_I0+10], v[vgprValuB_X2_I0_D1+1], v[vgprValuB_X2_I0_D0+1], s[sgprPackKForV1] // select K=01 for vector=1
v_perm_b32 v[vgprPackTemp], v[vgprValuB_X2_I0_D3+1], v[vgprValuB_X2_I0_D2+1], s[sgprPackKForV1] // select K=23 for vector=1
_v_lshl_or_b32 v[vgprValuB_X2_I0+10], v[vgprPackTemp], 0x10, v[vgprValuB_X2_I0+10] // pack two half Vgpr to one Vgpr
v_perm_b32 v[vgprValuB_X2_I0+11], v[vgprValuB_X2_I0_D5+1], v[vgprValuB_X2_I0_D4+1], s[sgprPackKForV1] // select K=45 for vector=1
v_perm_b32 v[vgprPackTemp], v[vgprValuB_X2_I0_D7+1], v[vgprValuB_X2_I0_D6+1], s[sgprPackKForV1] // select K=67 for vector=1
_v_lshl_or_b32 v[vgprValuB_X2_I0+11], v[vgprPackTemp], 0x10, v[vgprValuB_X2_I0+11] // pack two half Vgpr to one Vgpr
v_mfma_f32_16x16x32_bf8_fp8 a[48+0:51+0], v[vgprValuB_X2_I0+2+0+0:vgprValuB_X2_I0+2+0+0+1], v[vgprValuA_X2_I0+8+0+0:vgprValuA_X2_I0+8+0+0+1], a[48:51]
/*  mfmaIndex:140  */
/* localReadsVacancy: latencyLeft 2 */
/* pack scheduling: packAIdx:48, packBIdx:12 */
v_perm_b32 v[vgprValuB_X2_I0+12], v[vgprValuB_X2_I0_D1+1], v[vgprValuB_X2_I0_D0+1], s[sgprPackKForV2] // select K=01 for vector=2
v_perm_b32 v[vgprPackTemp], v[vgprValuB_X2_I0_D3+1], v[vgprValuB_X2_I0_D2+1], s[sgprPackKForV2] // select K=23 for vector=2
_v_lshl_or_b32 v[vgprValuB_X2_I0+12], v[vgprPackTemp], 0x10, v[vgprValuB_X2_I0+12] // pack two half Vgpr to one Vgpr
v_perm_b32 v[vgprValuB_X2_I0+13], v[vgprValuB_X2_I0_D5+1], v[vgprValuB_X2_I0_D4+1], s[sgprPackKForV2] // select K=45 for vector=2
v_perm_b32 v[vgprPackTemp], v[vgprValuB_X2_I0_D7+1], v[vgprValuB_X2_I0_D6+1], s[sgprPackKForV2] // select K=67 for vector=2
_v_lshl_or_b32 v[vgprValuB_X2_I0+13], v[vgprPackTemp], 0x10, v[vgprValuB_X2_I0+13] // pack two half Vgpr to one Vgpr
v_mfma_f32_16x16x32_bf8_fp8 a[44+0:47+0], v[vgprValuB_X2_I0+2+0+0:vgprValuB_X2_I0+2+0+0+1], v[vgprValuA_X2_I0+6+0+0:vgprValuA_X2_I0+6+0+0+1], a[44:47]
/*  mfmaIndex:141  */
/* localReadsVacancy: latencyLeft 2 */
/* pack scheduling: packAIdx:48, packBIdx:12 */
v_perm_b32 v[vgprValuB_X2_I0+14], v[vgprValuB_X2_I0_D1+1], v[vgprValuB_X2_I0_D0+1], s[sgprPackKForV3] // select K=01 for vector=3
v_perm_b32 v[vgprPackTemp], v[vgprValuB_X2_I0_D3+1], v[vgprValuB_X2_I0_D2+1], s[sgprPackKForV3] // select K=23 for vector=3
_v_lshl_or_b32 v[vgprValuB_X2_I0+14], v[vgprPackTemp], 0x10, v[vgprValuB_X2_I0+14] // pack two half Vgpr to one Vgpr
v_perm_b32 v[vgprValuB_X2_I0+15], v[vgprValuB_X2_I0_D5+1], v[vgprValuB_X2_I0_D4+1], s[sgprPackKForV3] // select K=45 for vector=3
v_perm_b32 v[vgprPackTemp], v[vgprValuB_X2_I0_D7+1], v[vgprValuB_X2_I0_D6+1], s[sgprPackKForV3] // select K=67 for vector=3
_v_lshl_or_b32 v[vgprValuB_X2_I0+15], v[vgprPackTemp], 0x10, v[vgprValuB_X2_I0+15] // pack two half Vgpr to one Vgpr
v_mfma_f32_16x16x32_bf8_fp8 a[40+0:43+0], v[vgprValuB_X2_I0+2+0+0:vgprValuB_X2_I0+2+0+0+1], v[vgprValuA_X2_I0+4+0+0:vgprValuA_X2_I0+4+0+0+1], a[40:43]
/*  mfmaIndex:142  */
/* localReadsVacancy: latencyLeft 2 */
v_mfma_f32_16x16x32_bf8_fp8 a[36+0:39+0], v[vgprValuB_X2_I0+2+0+0:vgprValuB_X2_I0+2+0+0+1], v[vgprValuA_X2_I0+2+0+0:vgprValuA_X2_I0+2+0+0+1], a[36:39]
/*  mfmaIndex:143  */
/* localReadsVacancy: latencyLeft 2 */
	;; [unrolled: 3-line block ×50, first 2 shown]
v_mfma_f32_16x16x32_bf8_fp8 a[224+0:227+0], v[vgprValuB_X2_I0+14+0+0:vgprValuB_X2_I0+14+0+0+1], v[vgprValuA_X2_I0+0+0+0:vgprValuA_X2_I0+0+0+0+1], a[224:227]
/* numPrefetchIter=0 */
/* dataAtIterA=1 numReadsIterA=3 skipReadsIterA=1 readsPerIterA=8 */
/* dataAtIterB=1 numReadsIterB=3 skipReadsIterB=1 readsPerIterB=8 */


/* closeLoop loopL finalLoop=0 tailLoop=1 */
s_sub_i32 s[sgprLoopCounterL], s[sgprLoopCounterL], 0x20 // dec counterL (tailLoop)
s_add_u32 s[sgprOrigLoopCounter], s[sgprOrigLoopCounter], 0x20 // inc counterL
s_cmp_le_i32 s[sgprLoopCounterL], 0x0              // counterL<=0
s_cbranch_scc1 TailLoopEndL_OptNLL_19              // exit LoopL


/* iter 3 (last unrolled loop) */

/*  grEndMfmaIndex:0, lwStartMfmaIndex:229, lwEndMfmaIndex:229  */
/*  numMfmaForLR:21, barrierMfmaIndex:234, LocalWritePerMfma:0.090 */
/*  mfmaIndex:192  */
s_waitcnt lgkmcnt(0)                               // lgkmcnt=0 vmcnt=-1wait for prior local read local write old=0, new=0 newLW=0 newLR=0
/* pack scheduling: packAIdx:6, packBIdx:6 */
v_perm_b32 v[vgprValuA_X3_I0+0], v[vgprValuA_X3_I0_D1+0], v[vgprValuA_X3_I0_D0+0], s[sgprPackKForV0] // select K=01 for vector=0
v_perm_b32 v[vgprPackTemp], v[vgprValuA_X3_I0_D3+0], v[vgprValuA_X3_I0_D2+0], s[sgprPackKForV0] // select K=23 for vector=0
_v_lshl_or_b32 v[vgprValuA_X3_I0+0], v[vgprPackTemp], 0x10, v[vgprValuA_X3_I0+0] // pack two half Vgpr to one Vgpr
v_perm_b32 v[vgprValuA_X3_I0+1], v[vgprValuA_X3_I0_D5+0], v[vgprValuA_X3_I0_D4+0], s[sgprPackKForV0] // select K=45 for vector=0
v_perm_b32 v[vgprPackTemp], v[vgprValuA_X3_I0_D7+0], v[vgprValuA_X3_I0_D6+0], s[sgprPackKForV0] // select K=67 for vector=0
_v_lshl_or_b32 v[vgprValuA_X3_I0+1], v[vgprPackTemp], 0x10, v[vgprValuA_X3_I0+1] // pack two half Vgpr to one Vgpr
v_perm_b32 v[vgprValuB_X3_I0+0], v[vgprValuB_X3_I0_D1+0], v[vgprValuB_X3_I0_D0+0], s[sgprPackKForV0] // select K=01 for vector=0
v_perm_b32 v[vgprPackTemp], v[vgprValuB_X3_I0_D3+0], v[vgprValuB_X3_I0_D2+0], s[sgprPackKForV0] // select K=23 for vector=0
_v_lshl_or_b32 v[vgprValuB_X3_I0+0], v[vgprPackTemp], 0x10, v[vgprValuB_X3_I0+0] // pack two half Vgpr to one Vgpr
v_perm_b32 v[vgprValuB_X3_I0+1], v[vgprValuB_X3_I0_D5+0], v[vgprValuB_X3_I0_D4+0], s[sgprPackKForV0] // select K=45 for vector=0
v_perm_b32 v[vgprPackTemp], v[vgprValuB_X3_I0_D7+0], v[vgprValuB_X3_I0_D6+0], s[sgprPackKForV0] // select K=67 for vector=0
_v_lshl_or_b32 v[vgprValuB_X3_I0+1], v[vgprPackTemp], 0x10, v[vgprValuB_X3_I0+1] // pack two half Vgpr to one Vgpr
v_perm_b32 v[vgprValuA_X3_I0+2], v[vgprValuA_X3_I0_D1+0], v[vgprValuA_X3_I0_D0+0], s[sgprPackKForV1] // select K=01 for vector=1
v_perm_b32 v[vgprPackTemp], v[vgprValuA_X3_I0_D3+0], v[vgprValuA_X3_I0_D2+0], s[sgprPackKForV1] // select K=23 for vector=1
_v_lshl_or_b32 v[vgprValuA_X3_I0+2], v[vgprPackTemp], 0x10, v[vgprValuA_X3_I0+2] // pack two half Vgpr to one Vgpr
v_perm_b32 v[vgprValuA_X3_I0+3], v[vgprValuA_X3_I0_D5+0], v[vgprValuA_X3_I0_D4+0], s[sgprPackKForV1] // select K=45 for vector=1
v_perm_b32 v[vgprPackTemp], v[vgprValuA_X3_I0_D7+0], v[vgprValuA_X3_I0_D6+0], s[sgprPackKForV1] // select K=67 for vector=1
_v_lshl_or_b32 v[vgprValuA_X3_I0+3], v[vgprPackTemp], 0x10, v[vgprValuA_X3_I0+3] // pack two half Vgpr to one Vgpr
s_nop 1
v_mfma_f32_16x16x32_bf8_fp8 a[0+0:3+0], v[vgprValuB_X3_I0+0+0+0:vgprValuB_X3_I0+0+0+0+1], v[vgprValuA_X3_I0+0+0+0:vgprValuA_X3_I0+0+0+0+1], a[0:3]
/*  mfmaIndex:193  */
/* pack scheduling: packAIdx:12, packBIdx:6 */
v_perm_b32 v[vgprValuA_X3_I0+4], v[vgprValuA_X3_I0_D1+0], v[vgprValuA_X3_I0_D0+0], s[sgprPackKForV2] // select K=01 for vector=2
v_perm_b32 v[vgprPackTemp], v[vgprValuA_X3_I0_D3+0], v[vgprValuA_X3_I0_D2+0], s[sgprPackKForV2] // select K=23 for vector=2
_v_lshl_or_b32 v[vgprValuA_X3_I0+4], v[vgprPackTemp], 0x10, v[vgprValuA_X3_I0+4] // pack two half Vgpr to one Vgpr
v_perm_b32 v[vgprValuA_X3_I0+5], v[vgprValuA_X3_I0_D5+0], v[vgprValuA_X3_I0_D4+0], s[sgprPackKForV2] // select K=45 for vector=2
v_perm_b32 v[vgprPackTemp], v[vgprValuA_X3_I0_D7+0], v[vgprValuA_X3_I0_D6+0], s[sgprPackKForV2] // select K=67 for vector=2
_v_lshl_or_b32 v[vgprValuA_X3_I0+5], v[vgprPackTemp], 0x10, v[vgprValuA_X3_I0+5] // pack two half Vgpr to one Vgpr
v_mfma_f32_16x16x32_bf8_fp8 a[4+0:7+0], v[vgprValuB_X3_I0+0+0+0:vgprValuB_X3_I0+0+0+0+1], v[vgprValuA_X3_I0+2+0+0:vgprValuA_X3_I0+2+0+0+1], a[4:7]
/*  mfmaIndex:194  */
/* pack scheduling: packAIdx:18, packBIdx:6 */
v_perm_b32 v[vgprValuA_X3_I0+6], v[vgprValuA_X3_I0_D1+0], v[vgprValuA_X3_I0_D0+0], s[sgprPackKForV3] // select K=01 for vector=3
v_perm_b32 v[vgprPackTemp], v[vgprValuA_X3_I0_D3+0], v[vgprValuA_X3_I0_D2+0], s[sgprPackKForV3] // select K=23 for vector=3
_v_lshl_or_b32 v[vgprValuA_X3_I0+6], v[vgprPackTemp], 0x10, v[vgprValuA_X3_I0+6] // pack two half Vgpr to one Vgpr
v_perm_b32 v[vgprValuA_X3_I0+7], v[vgprValuA_X3_I0_D5+0], v[vgprValuA_X3_I0_D4+0], s[sgprPackKForV3] // select K=45 for vector=3
v_perm_b32 v[vgprPackTemp], v[vgprValuA_X3_I0_D7+0], v[vgprValuA_X3_I0_D6+0], s[sgprPackKForV3] // select K=67 for vector=3
_v_lshl_or_b32 v[vgprValuA_X3_I0+7], v[vgprPackTemp], 0x10, v[vgprValuA_X3_I0+7] // pack two half Vgpr to one Vgpr
v_mfma_f32_16x16x32_bf8_fp8 a[8+0:11+0], v[vgprValuB_X3_I0+0+0+0:vgprValuB_X3_I0+0+0+0+1], v[vgprValuA_X3_I0+4+0+0:vgprValuA_X3_I0+4+0+0+1], a[8:11]
/*  mfmaIndex:195  */
/* pack scheduling: packAIdx:24, packBIdx:6 */
v_perm_b32 v[vgprValuA_X3_I0+8], v[vgprValuA_X3_I0_D1+1], v[vgprValuA_X3_I0_D0+1], s[sgprPackKForV0] // select K=01 for vector=0
v_perm_b32 v[vgprPackTemp], v[vgprValuA_X3_I0_D3+1], v[vgprValuA_X3_I0_D2+1], s[sgprPackKForV0] // select K=23 for vector=0
_v_lshl_or_b32 v[vgprValuA_X3_I0+8], v[vgprPackTemp], 0x10, v[vgprValuA_X3_I0+8] // pack two half Vgpr to one Vgpr
v_perm_b32 v[vgprValuA_X3_I0+9], v[vgprValuA_X3_I0_D5+1], v[vgprValuA_X3_I0_D4+1], s[sgprPackKForV0] // select K=45 for vector=0
v_perm_b32 v[vgprPackTemp], v[vgprValuA_X3_I0_D7+1], v[vgprValuA_X3_I0_D6+1], s[sgprPackKForV0] // select K=67 for vector=0
_v_lshl_or_b32 v[vgprValuA_X3_I0+9], v[vgprPackTemp], 0x10, v[vgprValuA_X3_I0+9] // pack two half Vgpr to one Vgpr
v_mfma_f32_16x16x32_bf8_fp8 a[12+0:15+0], v[vgprValuB_X3_I0+0+0+0:vgprValuB_X3_I0+0+0+0+1], v[vgprValuA_X3_I0+6+0+0:vgprValuA_X3_I0+6+0+0+1], a[12:15]
/*  mfmaIndex:196  */
/* pack scheduling: packAIdx:30, packBIdx:6 */
v_perm_b32 v[vgprValuA_X3_I0+10], v[vgprValuA_X3_I0_D1+1], v[vgprValuA_X3_I0_D0+1], s[sgprPackKForV1] // select K=01 for vector=1
v_perm_b32 v[vgprPackTemp], v[vgprValuA_X3_I0_D3+1], v[vgprValuA_X3_I0_D2+1], s[sgprPackKForV1] // select K=23 for vector=1
_v_lshl_or_b32 v[vgprValuA_X3_I0+10], v[vgprPackTemp], 0x10, v[vgprValuA_X3_I0+10] // pack two half Vgpr to one Vgpr
v_perm_b32 v[vgprValuA_X3_I0+11], v[vgprValuA_X3_I0_D5+1], v[vgprValuA_X3_I0_D4+1], s[sgprPackKForV1] // select K=45 for vector=1
v_perm_b32 v[vgprPackTemp], v[vgprValuA_X3_I0_D7+1], v[vgprValuA_X3_I0_D6+1], s[sgprPackKForV1] // select K=67 for vector=1
_v_lshl_or_b32 v[vgprValuA_X3_I0+11], v[vgprPackTemp], 0x10, v[vgprValuA_X3_I0+11] // pack two half Vgpr to one Vgpr
v_mfma_f32_16x16x32_bf8_fp8 a[16+0:19+0], v[vgprValuB_X3_I0+0+0+0:vgprValuB_X3_I0+0+0+0+1], v[vgprValuA_X3_I0+8+0+0:vgprValuA_X3_I0+8+0+0+1], a[16:19]
/*  mfmaIndex:197  */
/* pack scheduling: packAIdx:36, packBIdx:6 */
v_perm_b32 v[vgprValuA_X3_I0+12], v[vgprValuA_X3_I0_D1+1], v[vgprValuA_X3_I0_D0+1], s[sgprPackKForV2] // select K=01 for vector=2
v_perm_b32 v[vgprPackTemp], v[vgprValuA_X3_I0_D3+1], v[vgprValuA_X3_I0_D2+1], s[sgprPackKForV2] // select K=23 for vector=2
_v_lshl_or_b32 v[vgprValuA_X3_I0+12], v[vgprPackTemp], 0x10, v[vgprValuA_X3_I0+12] // pack two half Vgpr to one Vgpr
v_perm_b32 v[vgprValuA_X3_I0+13], v[vgprValuA_X3_I0_D5+1], v[vgprValuA_X3_I0_D4+1], s[sgprPackKForV2] // select K=45 for vector=2
v_perm_b32 v[vgprPackTemp], v[vgprValuA_X3_I0_D7+1], v[vgprValuA_X3_I0_D6+1], s[sgprPackKForV2] // select K=67 for vector=2
_v_lshl_or_b32 v[vgprValuA_X3_I0+13], v[vgprPackTemp], 0x10, v[vgprValuA_X3_I0+13] // pack two half Vgpr to one Vgpr
v_mfma_f32_16x16x32_bf8_fp8 a[20+0:23+0], v[vgprValuB_X3_I0+0+0+0:vgprValuB_X3_I0+0+0+0+1], v[vgprValuA_X3_I0+10+0+0:vgprValuA_X3_I0+10+0+0+1], a[20:23]
/*  mfmaIndex:198  */
/* pack scheduling: packAIdx:42, packBIdx:6 */
v_perm_b32 v[vgprValuA_X3_I0+14], v[vgprValuA_X3_I0_D1+1], v[vgprValuA_X3_I0_D0+1], s[sgprPackKForV3] // select K=01 for vector=3
v_perm_b32 v[vgprPackTemp], v[vgprValuA_X3_I0_D3+1], v[vgprValuA_X3_I0_D2+1], s[sgprPackKForV3] // select K=23 for vector=3
_v_lshl_or_b32 v[vgprValuA_X3_I0+14], v[vgprPackTemp], 0x10, v[vgprValuA_X3_I0+14] // pack two half Vgpr to one Vgpr
v_perm_b32 v[vgprValuA_X3_I0+15], v[vgprValuA_X3_I0_D5+1], v[vgprValuA_X3_I0_D4+1], s[sgprPackKForV3] // select K=45 for vector=3
v_perm_b32 v[vgprPackTemp], v[vgprValuA_X3_I0_D7+1], v[vgprValuA_X3_I0_D6+1], s[sgprPackKForV3] // select K=67 for vector=3
_v_lshl_or_b32 v[vgprValuA_X3_I0+15], v[vgprPackTemp], 0x10, v[vgprValuA_X3_I0+15] // pack two half Vgpr to one Vgpr
v_mfma_f32_16x16x32_bf8_fp8 a[24+0:27+0], v[vgprValuB_X3_I0+0+0+0:vgprValuB_X3_I0+0+0+0+1], v[vgprValuA_X3_I0+12+0+0:vgprValuA_X3_I0+12+0+0+1], a[24:27]
/*  mfmaIndex:199  */
/* pack scheduling: packAIdx:48, packBIdx:6 */
v_perm_b32 v[vgprValuB_X3_I0+2], v[vgprValuB_X3_I0_D1+0], v[vgprValuB_X3_I0_D0+0], s[sgprPackKForV1] // select K=01 for vector=1
v_perm_b32 v[vgprPackTemp], v[vgprValuB_X3_I0_D3+0], v[vgprValuB_X3_I0_D2+0], s[sgprPackKForV1] // select K=23 for vector=1
_v_lshl_or_b32 v[vgprValuB_X3_I0+2], v[vgprPackTemp], 0x10, v[vgprValuB_X3_I0+2] // pack two half Vgpr to one Vgpr
v_perm_b32 v[vgprValuB_X3_I0+3], v[vgprValuB_X3_I0_D5+0], v[vgprValuB_X3_I0_D4+0], s[sgprPackKForV1] // select K=45 for vector=1
v_perm_b32 v[vgprPackTemp], v[vgprValuB_X3_I0_D7+0], v[vgprValuB_X3_I0_D6+0], s[sgprPackKForV1] // select K=67 for vector=1
_v_lshl_or_b32 v[vgprValuB_X3_I0+3], v[vgprPackTemp], 0x10, v[vgprValuB_X3_I0+3] // pack two half Vgpr to one Vgpr
v_mfma_f32_16x16x32_bf8_fp8 a[28+0:31+0], v[vgprValuB_X3_I0+0+0+0:vgprValuB_X3_I0+0+0+0+1], v[vgprValuA_X3_I0+14+0+0:vgprValuA_X3_I0+14+0+0+1], a[28:31]
/*  mfmaIndex:200  */
/* pack scheduling: packAIdx:48, packBIdx:12 */
v_perm_b32 v[vgprValuB_X3_I0+4], v[vgprValuB_X3_I0_D1+0], v[vgprValuB_X3_I0_D0+0], s[sgprPackKForV2] // select K=01 for vector=2
v_perm_b32 v[vgprPackTemp], v[vgprValuB_X3_I0_D3+0], v[vgprValuB_X3_I0_D2+0], s[sgprPackKForV2] // select K=23 for vector=2
_v_lshl_or_b32 v[vgprValuB_X3_I0+4], v[vgprPackTemp], 0x10, v[vgprValuB_X3_I0+4] // pack two half Vgpr to one Vgpr
v_perm_b32 v[vgprValuB_X3_I0+5], v[vgprValuB_X3_I0_D5+0], v[vgprValuB_X3_I0_D4+0], s[sgprPackKForV2] // select K=45 for vector=2
v_perm_b32 v[vgprPackTemp], v[vgprValuB_X3_I0_D7+0], v[vgprValuB_X3_I0_D6+0], s[sgprPackKForV2] // select K=67 for vector=2
_v_lshl_or_b32 v[vgprValuB_X3_I0+5], v[vgprPackTemp], 0x10, v[vgprValuB_X3_I0+5] // pack two half Vgpr to one Vgpr
v_mfma_f32_16x16x32_bf8_fp8 a[60+0:63+0], v[vgprValuB_X3_I0+2+0+0:vgprValuB_X3_I0+2+0+0+1], v[vgprValuA_X3_I0+14+0+0:vgprValuA_X3_I0+14+0+0+1], a[60:63]
/*  mfmaIndex:201  */
/* pack scheduling: packAIdx:48, packBIdx:12 */
v_perm_b32 v[vgprValuB_X3_I0+6], v[vgprValuB_X3_I0_D1+0], v[vgprValuB_X3_I0_D0+0], s[sgprPackKForV3] // select K=01 for vector=3
v_perm_b32 v[vgprPackTemp], v[vgprValuB_X3_I0_D3+0], v[vgprValuB_X3_I0_D2+0], s[sgprPackKForV3] // select K=23 for vector=3
_v_lshl_or_b32 v[vgprValuB_X3_I0+6], v[vgprPackTemp], 0x10, v[vgprValuB_X3_I0+6] // pack two half Vgpr to one Vgpr
v_perm_b32 v[vgprValuB_X3_I0+7], v[vgprValuB_X3_I0_D5+0], v[vgprValuB_X3_I0_D4+0], s[sgprPackKForV3] // select K=45 for vector=3
v_perm_b32 v[vgprPackTemp], v[vgprValuB_X3_I0_D7+0], v[vgprValuB_X3_I0_D6+0], s[sgprPackKForV3] // select K=67 for vector=3
_v_lshl_or_b32 v[vgprValuB_X3_I0+7], v[vgprPackTemp], 0x10, v[vgprValuB_X3_I0+7] // pack two half Vgpr to one Vgpr
v_mfma_f32_16x16x32_bf8_fp8 a[56+0:59+0], v[vgprValuB_X3_I0+2+0+0:vgprValuB_X3_I0+2+0+0+1], v[vgprValuA_X3_I0+12+0+0:vgprValuA_X3_I0+12+0+0+1], a[56:59]
/*  mfmaIndex:202  */
/* pack scheduling: packAIdx:48, packBIdx:12 */
v_perm_b32 v[vgprValuB_X3_I0+8], v[vgprValuB_X3_I0_D1+1], v[vgprValuB_X3_I0_D0+1], s[sgprPackKForV0] // select K=01 for vector=0
v_perm_b32 v[vgprPackTemp], v[vgprValuB_X3_I0_D3+1], v[vgprValuB_X3_I0_D2+1], s[sgprPackKForV0] // select K=23 for vector=0
_v_lshl_or_b32 v[vgprValuB_X3_I0+8], v[vgprPackTemp], 0x10, v[vgprValuB_X3_I0+8] // pack two half Vgpr to one Vgpr
v_perm_b32 v[vgprValuB_X3_I0+9], v[vgprValuB_X3_I0_D5+1], v[vgprValuB_X3_I0_D4+1], s[sgprPackKForV0] // select K=45 for vector=0
v_perm_b32 v[vgprPackTemp], v[vgprValuB_X3_I0_D7+1], v[vgprValuB_X3_I0_D6+1], s[sgprPackKForV0] // select K=67 for vector=0
_v_lshl_or_b32 v[vgprValuB_X3_I0+9], v[vgprPackTemp], 0x10, v[vgprValuB_X3_I0+9] // pack two half Vgpr to one Vgpr
v_mfma_f32_16x16x32_bf8_fp8 a[52+0:55+0], v[vgprValuB_X3_I0+2+0+0:vgprValuB_X3_I0+2+0+0+1], v[vgprValuA_X3_I0+10+0+0:vgprValuA_X3_I0+10+0+0+1], a[52:55]
/*  mfmaIndex:203  */
/* pack scheduling: packAIdx:48, packBIdx:12 */
v_perm_b32 v[vgprValuB_X3_I0+10], v[vgprValuB_X3_I0_D1+1], v[vgprValuB_X3_I0_D0+1], s[sgprPackKForV1] // select K=01 for vector=1
v_perm_b32 v[vgprPackTemp], v[vgprValuB_X3_I0_D3+1], v[vgprValuB_X3_I0_D2+1], s[sgprPackKForV1] // select K=23 for vector=1
_v_lshl_or_b32 v[vgprValuB_X3_I0+10], v[vgprPackTemp], 0x10, v[vgprValuB_X3_I0+10] // pack two half Vgpr to one Vgpr
v_perm_b32 v[vgprValuB_X3_I0+11], v[vgprValuB_X3_I0_D5+1], v[vgprValuB_X3_I0_D4+1], s[sgprPackKForV1] // select K=45 for vector=1
v_perm_b32 v[vgprPackTemp], v[vgprValuB_X3_I0_D7+1], v[vgprValuB_X3_I0_D6+1], s[sgprPackKForV1] // select K=67 for vector=1
_v_lshl_or_b32 v[vgprValuB_X3_I0+11], v[vgprPackTemp], 0x10, v[vgprValuB_X3_I0+11] // pack two half Vgpr to one Vgpr
v_mfma_f32_16x16x32_bf8_fp8 a[48+0:51+0], v[vgprValuB_X3_I0+2+0+0:vgprValuB_X3_I0+2+0+0+1], v[vgprValuA_X3_I0+8+0+0:vgprValuA_X3_I0+8+0+0+1], a[48:51]
/*  mfmaIndex:204  */
/* pack scheduling: packAIdx:48, packBIdx:12 */
v_perm_b32 v[vgprValuB_X3_I0+12], v[vgprValuB_X3_I0_D1+1], v[vgprValuB_X3_I0_D0+1], s[sgprPackKForV2] // select K=01 for vector=2
v_perm_b32 v[vgprPackTemp], v[vgprValuB_X3_I0_D3+1], v[vgprValuB_X3_I0_D2+1], s[sgprPackKForV2] // select K=23 for vector=2
_v_lshl_or_b32 v[vgprValuB_X3_I0+12], v[vgprPackTemp], 0x10, v[vgprValuB_X3_I0+12] // pack two half Vgpr to one Vgpr
v_perm_b32 v[vgprValuB_X3_I0+13], v[vgprValuB_X3_I0_D5+1], v[vgprValuB_X3_I0_D4+1], s[sgprPackKForV2] // select K=45 for vector=2
v_perm_b32 v[vgprPackTemp], v[vgprValuB_X3_I0_D7+1], v[vgprValuB_X3_I0_D6+1], s[sgprPackKForV2] // select K=67 for vector=2
_v_lshl_or_b32 v[vgprValuB_X3_I0+13], v[vgprPackTemp], 0x10, v[vgprValuB_X3_I0+13] // pack two half Vgpr to one Vgpr
v_mfma_f32_16x16x32_bf8_fp8 a[44+0:47+0], v[vgprValuB_X3_I0+2+0+0:vgprValuB_X3_I0+2+0+0+1], v[vgprValuA_X3_I0+6+0+0:vgprValuA_X3_I0+6+0+0+1], a[44:47]
/*  mfmaIndex:205  */
/* pack scheduling: packAIdx:48, packBIdx:12 */
v_perm_b32 v[vgprValuB_X3_I0+14], v[vgprValuB_X3_I0_D1+1], v[vgprValuB_X3_I0_D0+1], s[sgprPackKForV3] // select K=01 for vector=3
v_perm_b32 v[vgprPackTemp], v[vgprValuB_X3_I0_D3+1], v[vgprValuB_X3_I0_D2+1], s[sgprPackKForV3] // select K=23 for vector=3
_v_lshl_or_b32 v[vgprValuB_X3_I0+14], v[vgprPackTemp], 0x10, v[vgprValuB_X3_I0+14] // pack two half Vgpr to one Vgpr
v_perm_b32 v[vgprValuB_X3_I0+15], v[vgprValuB_X3_I0_D5+1], v[vgprValuB_X3_I0_D4+1], s[sgprPackKForV3] // select K=45 for vector=3
v_perm_b32 v[vgprPackTemp], v[vgprValuB_X3_I0_D7+1], v[vgprValuB_X3_I0_D6+1], s[sgprPackKForV3] // select K=67 for vector=3
_v_lshl_or_b32 v[vgprValuB_X3_I0+15], v[vgprPackTemp], 0x10, v[vgprValuB_X3_I0+15] // pack two half Vgpr to one Vgpr
v_mfma_f32_16x16x32_bf8_fp8 a[40+0:43+0], v[vgprValuB_X3_I0+2+0+0:vgprValuB_X3_I0+2+0+0+1], v[vgprValuA_X3_I0+4+0+0:vgprValuA_X3_I0+4+0+0+1], a[40:43]
/*  mfmaIndex:206  */
v_mfma_f32_16x16x32_bf8_fp8 a[36+0:39+0], v[vgprValuB_X3_I0+2+0+0:vgprValuB_X3_I0+2+0+0+1], v[vgprValuA_X3_I0+2+0+0:vgprValuA_X3_I0+2+0+0+1], a[36:39]
/*  mfmaIndex:207  */
	;; [unrolled: 2-line block ×23, first 2 shown]
/* 1 LDS buffer: read-sync-write */
s_waitcnt lgkmcnt(0)                               // 
s_barrier                                          // 
v_mfma_f32_16x16x32_bf8_fp8 a[144+0:147+0], v[vgprValuB_X3_I0+8+0+0:vgprValuB_X3_I0+8+0+0+1], v[vgprValuA_X3_I0+8+0+0:vgprValuA_X3_I0+8+0+0+1], a[144:147]
/*  mfmaIndex:229  */
s_setprio 3                                        // store optimization
v_mfma_f32_16x16x32_bf8_fp8 a[148+0:151+0], v[vgprValuB_X3_I0+8+0+0:vgprValuB_X3_I0+8+0+0+1], v[vgprValuA_X3_I0+10+0+0:vgprValuA_X3_I0+10+0+0+1], a[148:151]
/*  mfmaIndex:230  */
v_mfma_f32_16x16x32_bf8_fp8 a[152+0:155+0], v[vgprValuB_X3_I0+8+0+0:vgprValuB_X3_I0+8+0+0+1], v[vgprValuA_X3_I0+12+0+0:vgprValuA_X3_I0+12+0+0+1], a[152:155]
/*  mfmaIndex:231  */
	;; [unrolled: 2-line block ×4, first 2 shown]
v_mfma_f32_16x16x32_bf8_fp8 a[184+0:187+0], v[vgprValuB_X3_I0+10+0+0:vgprValuB_X3_I0+10+0+0+1], v[vgprValuA_X3_I0+12+0+0:vgprValuA_X3_I0+12+0+0+1], a[184:187]
s_setprio 0                                        // store optimization
/*  mfmaIndex:234  */
v_mfma_f32_16x16x32_bf8_fp8 a[180+0:183+0], v[vgprValuB_X3_I0+10+0+0:vgprValuB_X3_I0+10+0+0+1], v[vgprValuA_X3_I0+10+0+0:vgprValuA_X3_I0+10+0+0+1], a[180:183]
/*  mfmaIndex:235  */
s_setprio 3                                        // store optimization
v_mfma_f32_16x16x32_bf8_fp8 a[176+0:179+0], v[vgprValuB_X3_I0+10+0+0:vgprValuB_X3_I0+10+0+0+1], v[vgprValuA_X3_I0+8+0+0:vgprValuA_X3_I0+8+0+0+1], a[176:179]
/*  mfmaIndex:236  */
v_mfma_f32_16x16x32_bf8_fp8 a[172+0:175+0], v[vgprValuB_X3_I0+10+0+0:vgprValuB_X3_I0+10+0+0+1], v[vgprValuA_X3_I0+6+0+0:vgprValuA_X3_I0+6+0+0+1], a[172:175]
/*  mfmaIndex:237  */
	;; [unrolled: 2-line block ×20, first 2 shown]
v_mfma_f32_16x16x32_bf8_fp8 a[224+0:227+0], v[vgprValuB_X3_I0+14+0+0:vgprValuB_X3_I0+14+0+0+1], v[vgprValuA_X3_I0+0+0+0:vgprValuA_X3_I0+0+0+0+1], a[224:227]
/* numPrefetchIter=0 */
/* dataAtIterA=2 numReadsIterA=3 skipReadsIterA=0 readsPerIterA=8 */
/* dataAtIterB=2 numReadsIterB=3 skipReadsIterB=0 readsPerIterB=8 */

TailLoopEndL_OptNLL_19:

s_waitcnt lgkmcnt(0)                               // lgkmcnt=0 vmcnt=-113wait for remaining local read for tail loop in NLL

/* Stores for OptNLL */
Summation_End_OptNLL_22:
s_setprio 0                                        // optimization store
/* endSummation: add vgpr [0...228) to pool */
.set NumFullBlocks, UNDEF
.set WgmRemainder1, UNDEF
.set MagicNumberWgmRemainder1, UNDEF
.set ScalarGlobalReadOffsetA, UNDEF
.set ScalarGlobalReadOffsetB, UNDEF

/* Mapping of Acc register -> C Vgpr register */
/* computeStoreVgprs */
v_lshrrev_b32 v4, 6, v[vgprSerial]                 // v4 = v[vgprSerial] / 64
v_and_b32 v1, 63, v[vgprSerial]                    // v1 = v[vgprSerial] % 64
v_lshrrev_b32 v1, 4, v1                            // v1 = v1 / 16
v_lshlrev_b32 v1, 0x2, v1                          // thread0 * continuous_output
v_lshrrev_b32 v5, 1, v4                            // v5 = v4 / 2
v_mul_lo_u32 v5, 0x10, v5                          // wave coordination offset 1
_v_add_lshl_u32 v1, v5, v1, 3                      // coordination 1 = vwb *(wave_id1 + tid1)
v_mul_lo_u32 v2, v1, s[sgprStrideC1J]              //  offset 1
v_mul_lo_u32 v3, v1, s[sgprStrideD1J]              //  offset 1
v_and_b32 v5, 1, v4                                // v5 = v4 % 2
v_mul_lo_u32 v5, 0x10, v5                          // wave coordination offset 0
v_and_b32 v0, 15, v[vgprSerial]                    // v0 = v[vgprSerial] % 16
_v_add_lshl_u32 v0, v5, v0, 3                      // coordination 0 = vwa *(wave_id0 + tid0)
s_mul_i32 s35, 256, s[sgprWorkGroup0]              // wgp0 * MT0
_v_add_u32 v0, s35, v0                             // coord 0 = (tid0/MI_m)*4 + waveG0*MIB_m + MT0*SG0
s_mul_i32 s35, 256, s[sgprWorkGroup1]              // wgp1 * MT1
_v_add_u32 v1, s35, v1                             // coord 1 = (tid0%MI_m) + waveG1*MIB_n + MT1*SG1
GW_B0_E0_25:

/* edge=0, allocate 2 sgpr. perBatchTmpS=2 perBatchMaskS=0 perElementMaskS=0 elementsPerBatch=29 */
/* optSingleColVgpr=1 optSharedColVgpr=0 optSGPRUsage=BufferLoad_Mask optSrdIncForRow=1 */

/******************************************/
/* Global Write Batch #0 (d1,d0,vc1,vc0) = */
/*    (0,0,0,0:vw8); (0,0,1,0:vw8); (0,0,2,0:vw8); (0,0,3,0:vw8); (0,0,4,0:vw8); (0,0,5,0:vw8); (0,0,6,0:vw8); (0,0,7,0:vw8); (0,0,8,0:vw8); (0,0,9,0:vw8); (0,0,10,0:vw8); (0,0,11,0:vw8); (0,0,12,0:vw8); (0,0,13,0:vw8); (0,0,14,0:vw8); (0,0,15,0:vw8); (0,0,16,0:vw8); (0,0,17,0:vw8); (0,0,18,0:vw8); (0,0,19,0:vw8); (0,0,20,0:vw8); (0,0,21,0:vw8); (0,0,22,0:vw8); (0,0,23,0:vw8); (0,0,24,0:vw8); (0,0,25,0:vw8); (0,0,26,0:vw8); (0,0,27,0:vw8); (0,0,28,0:vw8) */
/******************************************/

/* calc coords, apply mask, and issue loads (if necessary) */
/* (d1,vc1,d0,vc0)=(0,0,0,0) */
/* (d1,vc1,d0,vc0)=(0,1,0,0) */
	;; [unrolled: 1-line block ×29, first 2 shown]
_v_add_lshl_u32 v11, v3, v0, 0x0                   // optSingleColVgpr scaleToBpe: sharedAddrVgpr <- cinRowPtr + coord0, scaled by BPE. BSHERE:coord0=0, coord0Vgpr=0
v_accvgpr_read_b32 v[vgprValuC+16], acc0 // copy acc to vreg[0]
v_accvgpr_read_b32 v[vgprValuC+17], acc4 // copy acc to vreg[1]
v_accvgpr_read_b32 v[vgprValuC+18], acc8 // copy acc to vreg[2]
v_accvgpr_read_b32 v[vgprValuC+19], acc12 // copy acc to vreg[3]
v_accvgpr_read_b32 v[vgprValuC+20], acc16 // copy acc to vreg[4]
v_accvgpr_read_b32 v[vgprValuC+21], acc20 // copy acc to vreg[5]
v_accvgpr_read_b32 v[vgprValuC+22], acc24 // copy acc to vreg[6]
v_accvgpr_read_b32 v[vgprValuC+23], acc28 // copy acc to vreg[7]
v_accvgpr_read_b32 v[vgprValuC+24], acc32 // copy acc to vreg[8]
v_accvgpr_read_b32 v[vgprValuC+25], acc36 // copy acc to vreg[9]
v_accvgpr_read_b32 v[vgprValuC+26], acc40 // copy acc to vreg[10]
v_accvgpr_read_b32 v[vgprValuC+27], acc44 // copy acc to vreg[11]
v_accvgpr_read_b32 v[vgprValuC+28], acc48 // copy acc to vreg[12]
v_accvgpr_read_b32 v[vgprValuC+29], acc52 // copy acc to vreg[13]
v_accvgpr_read_b32 v[vgprValuC+30], acc56 // copy acc to vreg[14]
v_accvgpr_read_b32 v[vgprValuC+31], acc60 // copy acc to vreg[15]
v_accvgpr_read_b32 v[vgprValuC+32], acc64 // copy acc to vreg[16]
v_accvgpr_read_b32 v[vgprValuC+33], acc68 // copy acc to vreg[17]
v_accvgpr_read_b32 v[vgprValuC+34], acc72 // copy acc to vreg[18]
v_accvgpr_read_b32 v[vgprValuC+35], acc76 // copy acc to vreg[19]
v_accvgpr_read_b32 v[vgprValuC+36], acc80 // copy acc to vreg[20]
v_accvgpr_read_b32 v[vgprValuC+37], acc84 // copy acc to vreg[21]
v_accvgpr_read_b32 v[vgprValuC+38], acc88 // copy acc to vreg[22]
v_accvgpr_read_b32 v[vgprValuC+39], acc92 // copy acc to vreg[23]
v_accvgpr_read_b32 v[vgprValuC+40], acc96 // copy acc to vreg[24]
v_accvgpr_read_b32 v[vgprValuC+41], acc100 // copy acc to vreg[25]
v_accvgpr_read_b32 v[vgprValuC+42], acc104 // copy acc to vreg[26]
v_accvgpr_read_b32 v[vgprValuC+43], acc108 // copy acc to vreg[27]
v_accvgpr_read_b32 v[vgprValuC+44], acc112 // copy acc to vreg[28]
v_accvgpr_read_b32 v[vgprValuC+45], acc116 // copy acc to vreg[29]
v_accvgpr_read_b32 v[vgprValuC+46], acc120 // copy acc to vreg[30]
v_accvgpr_read_b32 v[vgprValuC+47], acc124 // copy acc to vreg[31]
v_accvgpr_read_b32 v[vgprValuC+48], acc128 // copy acc to vreg[32]
v_accvgpr_read_b32 v[vgprValuC+49], acc132 // copy acc to vreg[33]
v_accvgpr_read_b32 v[vgprValuC+50], acc136 // copy acc to vreg[34]
v_accvgpr_read_b32 v[vgprValuC+51], acc140 // copy acc to vreg[35]
v_accvgpr_read_b32 v[vgprValuC+52], acc144 // copy acc to vreg[36]
v_accvgpr_read_b32 v[vgprValuC+53], acc148 // copy acc to vreg[37]
v_accvgpr_read_b32 v[vgprValuC+54], acc152 // copy acc to vreg[38]
v_accvgpr_read_b32 v[vgprValuC+55], acc156 // copy acc to vreg[39]
v_accvgpr_read_b32 v[vgprValuC+56], acc160 // copy acc to vreg[40]
v_accvgpr_read_b32 v[vgprValuC+57], acc164 // copy acc to vreg[41]
v_accvgpr_read_b32 v[vgprValuC+58], acc168 // copy acc to vreg[42]
v_accvgpr_read_b32 v[vgprValuC+59], acc172 // copy acc to vreg[43]
v_accvgpr_read_b32 v[vgprValuC+60], acc176 // copy acc to vreg[44]
v_accvgpr_read_b32 v[vgprValuC+61], acc180 // copy acc to vreg[45]
v_accvgpr_read_b32 v[vgprValuC+62], acc184 // copy acc to vreg[46]
v_accvgpr_read_b32 v[vgprValuC+63], acc188 // copy acc to vreg[47]
v_accvgpr_read_b32 v[vgprValuC+64], acc192 // copy acc to vreg[48]
v_accvgpr_read_b32 v[vgprValuC+65], acc196 // copy acc to vreg[49]
v_accvgpr_read_b32 v[vgprValuC+66], acc200 // copy acc to vreg[50]
v_accvgpr_read_b32 v[vgprValuC+67], acc204 // copy acc to vreg[51]
v_accvgpr_read_b32 v[vgprValuC+68], acc208 // copy acc to vreg[52]
v_accvgpr_read_b32 v[vgprValuC+69], acc212 // copy acc to vreg[53]
v_accvgpr_read_b32 v[vgprValuC+70], acc216 // copy acc to vreg[54]
v_accvgpr_read_b32 v[vgprValuC+71], acc220 // copy acc to vreg[55]
v_accvgpr_read_b32 v[vgprValuC+72], acc224 // copy acc to vreg[56]
v_accvgpr_read_b32 v[vgprValuC+73], acc228 // copy acc to vreg[57]
v_accvgpr_read_b32 v[vgprValuC+74], acc232 // copy acc to vreg[58]
v_accvgpr_read_b32 v[vgprValuC+75], acc236 // copy acc to vreg[59]
v_accvgpr_read_b32 v[vgprValuC+76], acc240 // copy acc to vreg[60]
v_accvgpr_read_b32 v[vgprValuC+77], acc244 // copy acc to vreg[61]
v_accvgpr_read_b32 v[vgprValuC+78], acc248 // copy acc to vreg[62]
v_accvgpr_read_b32 v[vgprValuC+79], acc252 // copy acc to vreg[63]
v_accvgpr_read_b32 v[vgprValuC+80], acc1 // copy acc to vreg[64]
v_accvgpr_read_b32 v[vgprValuC+81], acc5 // copy acc to vreg[65]
v_accvgpr_read_b32 v[vgprValuC+82], acc9 // copy acc to vreg[66]
v_accvgpr_read_b32 v[vgprValuC+83], acc13 // copy acc to vreg[67]
v_accvgpr_read_b32 v[vgprValuC+84], acc17 // copy acc to vreg[68]
v_accvgpr_read_b32 v[vgprValuC+85], acc21 // copy acc to vreg[69]
v_accvgpr_read_b32 v[vgprValuC+86], acc25 // copy acc to vreg[70]
v_accvgpr_read_b32 v[vgprValuC+87], acc29 // copy acc to vreg[71]
v_accvgpr_read_b32 v[vgprValuC+88], acc33 // copy acc to vreg[72]
v_accvgpr_read_b32 v[vgprValuC+89], acc37 // copy acc to vreg[73]
v_accvgpr_read_b32 v[vgprValuC+90], acc41 // copy acc to vreg[74]
v_accvgpr_read_b32 v[vgprValuC+91], acc45 // copy acc to vreg[75]
v_accvgpr_read_b32 v[vgprValuC+92], acc49 // copy acc to vreg[76]
v_accvgpr_read_b32 v[vgprValuC+93], acc53 // copy acc to vreg[77]
v_accvgpr_read_b32 v[vgprValuC+94], acc57 // copy acc to vreg[78]
v_accvgpr_read_b32 v[vgprValuC+95], acc61 // copy acc to vreg[79]
v_accvgpr_read_b32 v[vgprValuC+96], acc65 // copy acc to vreg[80]
v_accvgpr_read_b32 v[vgprValuC+97], acc69 // copy acc to vreg[81]
v_accvgpr_read_b32 v[vgprValuC+98], acc73 // copy acc to vreg[82]
v_accvgpr_read_b32 v[vgprValuC+99], acc77 // copy acc to vreg[83]
v_accvgpr_read_b32 v[vgprValuC+100], acc81 // copy acc to vreg[84]
v_accvgpr_read_b32 v[vgprValuC+101], acc85 // copy acc to vreg[85]
v_accvgpr_read_b32 v[vgprValuC+102], acc89 // copy acc to vreg[86]
v_accvgpr_read_b32 v[vgprValuC+103], acc93 // copy acc to vreg[87]
v_accvgpr_read_b32 v[vgprValuC+104], acc97 // copy acc to vreg[88]
v_accvgpr_read_b32 v[vgprValuC+105], acc101 // copy acc to vreg[89]
v_accvgpr_read_b32 v[vgprValuC+106], acc105 // copy acc to vreg[90]
v_accvgpr_read_b32 v[vgprValuC+107], acc109 // copy acc to vreg[91]
v_accvgpr_read_b32 v[vgprValuC+108], acc113 // copy acc to vreg[92]
v_accvgpr_read_b32 v[vgprValuC+109], acc117 // copy acc to vreg[93]
v_accvgpr_read_b32 v[vgprValuC+110], acc121 // copy acc to vreg[94]
v_accvgpr_read_b32 v[vgprValuC+111], acc125 // copy acc to vreg[95]
v_accvgpr_read_b32 v[vgprValuC+112], acc129 // copy acc to vreg[96]
v_accvgpr_read_b32 v[vgprValuC+113], acc133 // copy acc to vreg[97]
v_accvgpr_read_b32 v[vgprValuC+114], acc137 // copy acc to vreg[98]
v_accvgpr_read_b32 v[vgprValuC+115], acc141 // copy acc to vreg[99]
v_accvgpr_read_b32 v[vgprValuC+116], acc145 // copy acc to vreg[100]
v_accvgpr_read_b32 v[vgprValuC+117], acc149 // copy acc to vreg[101]
v_accvgpr_read_b32 v[vgprValuC+118], acc153 // copy acc to vreg[102]
v_accvgpr_read_b32 v[vgprValuC+119], acc157 // copy acc to vreg[103]
v_accvgpr_read_b32 v[vgprValuC+120], acc161 // copy acc to vreg[104]
v_accvgpr_read_b32 v[vgprValuC+121], acc165 // copy acc to vreg[105]
v_accvgpr_read_b32 v[vgprValuC+122], acc169 // copy acc to vreg[106]
v_accvgpr_read_b32 v[vgprValuC+123], acc173 // copy acc to vreg[107]
v_accvgpr_read_b32 v[vgprValuC+124], acc177 // copy acc to vreg[108]
v_accvgpr_read_b32 v[vgprValuC+125], acc181 // copy acc to vreg[109]
v_accvgpr_read_b32 v[vgprValuC+126], acc185 // copy acc to vreg[110]
v_accvgpr_read_b32 v[vgprValuC+127], acc189 // copy acc to vreg[111]
v_accvgpr_read_b32 v[vgprValuC+128], acc193 // copy acc to vreg[112]
v_accvgpr_read_b32 v[vgprValuC+129], acc197 // copy acc to vreg[113]
v_accvgpr_read_b32 v[vgprValuC+130], acc201 // copy acc to vreg[114]
v_accvgpr_read_b32 v[vgprValuC+131], acc205 // copy acc to vreg[115]
v_accvgpr_read_b32 v[vgprValuC+132], acc209 // copy acc to vreg[116]
v_accvgpr_read_b32 v[vgprValuC+133], acc213 // copy acc to vreg[117]
v_accvgpr_read_b32 v[vgprValuC+134], acc217 // copy acc to vreg[118]
v_accvgpr_read_b32 v[vgprValuC+135], acc221 // copy acc to vreg[119]
v_accvgpr_read_b32 v[vgprValuC+136], acc225 // copy acc to vreg[120]
v_accvgpr_read_b32 v[vgprValuC+137], acc229 // copy acc to vreg[121]
v_accvgpr_read_b32 v[vgprValuC+138], acc233 // copy acc to vreg[122]
v_accvgpr_read_b32 v[vgprValuC+139], acc237 // copy acc to vreg[123]
v_accvgpr_read_b32 v[vgprValuC+140], acc241 // copy acc to vreg[124]
v_accvgpr_read_b32 v[vgprValuC+141], acc245 // copy acc to vreg[125]
v_accvgpr_read_b32 v[vgprValuC+142], acc249 // copy acc to vreg[126]
v_accvgpr_read_b32 v[vgprValuC+143], acc253 // copy acc to vreg[127]
v_accvgpr_read_b32 v[vgprValuC+144], acc2 // copy acc to vreg[128]
v_accvgpr_read_b32 v[vgprValuC+145], acc6 // copy acc to vreg[129]
v_accvgpr_read_b32 v[vgprValuC+146], acc10 // copy acc to vreg[130]
v_accvgpr_read_b32 v[vgprValuC+147], acc14 // copy acc to vreg[131]
v_accvgpr_read_b32 v[vgprValuC+148], acc18 // copy acc to vreg[132]
v_accvgpr_read_b32 v[vgprValuC+149], acc22 // copy acc to vreg[133]
v_accvgpr_read_b32 v[vgprValuC+150], acc26 // copy acc to vreg[134]
v_accvgpr_read_b32 v[vgprValuC+151], acc30 // copy acc to vreg[135]
v_accvgpr_read_b32 v[vgprValuC+152], acc34 // copy acc to vreg[136]
v_accvgpr_read_b32 v[vgprValuC+153], acc38 // copy acc to vreg[137]
v_accvgpr_read_b32 v[vgprValuC+154], acc42 // copy acc to vreg[138]
v_accvgpr_read_b32 v[vgprValuC+155], acc46 // copy acc to vreg[139]
v_accvgpr_read_b32 v[vgprValuC+156], acc50 // copy acc to vreg[140]
v_accvgpr_read_b32 v[vgprValuC+157], acc54 // copy acc to vreg[141]
v_accvgpr_read_b32 v[vgprValuC+158], acc58 // copy acc to vreg[142]
v_accvgpr_read_b32 v[vgprValuC+159], acc62 // copy acc to vreg[143]
v_accvgpr_read_b32 v[vgprValuC+160], acc66 // copy acc to vreg[144]
v_accvgpr_read_b32 v[vgprValuC+161], acc70 // copy acc to vreg[145]
v_accvgpr_read_b32 v[vgprValuC+162], acc74 // copy acc to vreg[146]
v_accvgpr_read_b32 v[vgprValuC+163], acc78 // copy acc to vreg[147]
v_accvgpr_read_b32 v[vgprValuC+164], acc82 // copy acc to vreg[148]
v_accvgpr_read_b32 v[vgprValuC+165], acc86 // copy acc to vreg[149]
v_accvgpr_read_b32 v[vgprValuC+166], acc90 // copy acc to vreg[150]
v_accvgpr_read_b32 v[vgprValuC+167], acc94 // copy acc to vreg[151]
v_accvgpr_read_b32 v[vgprValuC+168], acc98 // copy acc to vreg[152]
v_accvgpr_read_b32 v[vgprValuC+169], acc102 // copy acc to vreg[153]
v_accvgpr_read_b32 v[vgprValuC+170], acc106 // copy acc to vreg[154]
v_accvgpr_read_b32 v[vgprValuC+171], acc110 // copy acc to vreg[155]
v_accvgpr_read_b32 v[vgprValuC+172], acc114 // copy acc to vreg[156]
v_accvgpr_read_b32 v[vgprValuC+173], acc118 // copy acc to vreg[157]
v_accvgpr_read_b32 v[vgprValuC+174], acc122 // copy acc to vreg[158]
v_accvgpr_read_b32 v[vgprValuC+175], acc126 // copy acc to vreg[159]
v_accvgpr_read_b32 v[vgprValuC+176], acc130 // copy acc to vreg[160]
v_accvgpr_read_b32 v[vgprValuC+177], acc134 // copy acc to vreg[161]
v_accvgpr_read_b32 v[vgprValuC+178], acc138 // copy acc to vreg[162]
v_accvgpr_read_b32 v[vgprValuC+179], acc142 // copy acc to vreg[163]
v_accvgpr_read_b32 v[vgprValuC+180], acc146 // copy acc to vreg[164]
v_accvgpr_read_b32 v[vgprValuC+181], acc150 // copy acc to vreg[165]
v_accvgpr_read_b32 v[vgprValuC+182], acc154 // copy acc to vreg[166]
v_accvgpr_read_b32 v[vgprValuC+183], acc158 // copy acc to vreg[167]
v_accvgpr_read_b32 v[vgprValuC+184], acc162 // copy acc to vreg[168]
v_accvgpr_read_b32 v[vgprValuC+185], acc166 // copy acc to vreg[169]
v_accvgpr_read_b32 v[vgprValuC+186], acc170 // copy acc to vreg[170]
v_accvgpr_read_b32 v[vgprValuC+187], acc174 // copy acc to vreg[171]
v_accvgpr_read_b32 v[vgprValuC+188], acc178 // copy acc to vreg[172]
v_accvgpr_read_b32 v[vgprValuC+189], acc182 // copy acc to vreg[173]
v_accvgpr_read_b32 v[vgprValuC+190], acc186 // copy acc to vreg[174]
v_accvgpr_read_b32 v[vgprValuC+191], acc190 // copy acc to vreg[175]
v_accvgpr_read_b32 v[vgprValuC+192], acc194 // copy acc to vreg[176]
v_accvgpr_read_b32 v[vgprValuC+193], acc198 // copy acc to vreg[177]
v_accvgpr_read_b32 v[vgprValuC+194], acc202 // copy acc to vreg[178]
v_accvgpr_read_b32 v[vgprValuC+195], acc206 // copy acc to vreg[179]
v_accvgpr_read_b32 v[vgprValuC+196], acc210 // copy acc to vreg[180]
v_accvgpr_read_b32 v[vgprValuC+197], acc214 // copy acc to vreg[181]
v_accvgpr_read_b32 v[vgprValuC+198], acc218 // copy acc to vreg[182]
v_accvgpr_read_b32 v[vgprValuC+199], acc222 // copy acc to vreg[183]
v_accvgpr_read_b32 v[vgprValuC+200], acc226 // copy acc to vreg[184]
v_accvgpr_read_b32 v[vgprValuC+201], acc230 // copy acc to vreg[185]
v_accvgpr_read_b32 v[vgprValuC+202], acc234 // copy acc to vreg[186]
v_accvgpr_read_b32 v[vgprValuC+203], acc238 // copy acc to vreg[187]
v_accvgpr_read_b32 v[vgprValuC+204], acc242 // copy acc to vreg[188]
v_accvgpr_read_b32 v[vgprValuC+205], acc246 // copy acc to vreg[189]
v_accvgpr_read_b32 v[vgprValuC+206], acc250 // copy acc to vreg[190]
v_accvgpr_read_b32 v[vgprValuC+207], acc254 // copy acc to vreg[191]
v_accvgpr_read_b32 v[vgprValuC+208], acc3 // copy acc to vreg[192]
v_accvgpr_read_b32 v[vgprValuC+209], acc7 // copy acc to vreg[193]
v_accvgpr_read_b32 v[vgprValuC+210], acc11 // copy acc to vreg[194]
v_accvgpr_read_b32 v[vgprValuC+211], acc15 // copy acc to vreg[195]
v_accvgpr_read_b32 v[vgprValuC+212], acc19 // copy acc to vreg[196]
v_accvgpr_read_b32 v[vgprValuC+213], acc23 // copy acc to vreg[197]
v_accvgpr_read_b32 v[vgprValuC+214], acc27 // copy acc to vreg[198]
v_accvgpr_read_b32 v[vgprValuC+215], acc31 // copy acc to vreg[199]
v_accvgpr_read_b32 v[vgprValuC+216], acc35 // copy acc to vreg[200]
v_accvgpr_read_b32 v[vgprValuC+217], acc39 // copy acc to vreg[201]
v_accvgpr_read_b32 v[vgprValuC+218], acc43 // copy acc to vreg[202]
v_accvgpr_read_b32 v[vgprValuC+219], acc47 // copy acc to vreg[203]
v_accvgpr_read_b32 v[vgprValuC+220], acc51 // copy acc to vreg[204]
v_accvgpr_read_b32 v[vgprValuC+221], acc55 // copy acc to vreg[205]
v_accvgpr_read_b32 v[vgprValuC+222], acc59 // copy acc to vreg[206]
v_accvgpr_read_b32 v[vgprValuC+223], acc63 // copy acc to vreg[207]
v_accvgpr_read_b32 v[vgprValuC+232], acc67 // copy acc to vreg[208]
v_accvgpr_read_b32 v[vgprValuC+233], acc71 // copy acc to vreg[209]
v_accvgpr_read_b32 v[vgprValuC+234], acc75 // copy acc to vreg[210]
v_accvgpr_read_b32 v[vgprValuC+235], acc79 // copy acc to vreg[211]
v_accvgpr_read_b32 v[vgprValuC+236], acc83 // copy acc to vreg[212]
v_accvgpr_read_b32 v[vgprValuC+237], acc87 // copy acc to vreg[213]
v_accvgpr_read_b32 v[vgprValuC+238], acc91 // copy acc to vreg[214]
v_accvgpr_read_b32 v[vgprValuC+239], acc95 // copy acc to vreg[215]
v_accvgpr_read_b32 v[vgprValuC+240], acc99 // copy acc to vreg[216]
v_accvgpr_read_b32 v[vgprValuC+241], acc103 // copy acc to vreg[217]
v_accvgpr_read_b32 v[vgprValuC+242], acc107 // copy acc to vreg[218]
v_accvgpr_read_b32 v[vgprValuC+243], acc111 // copy acc to vreg[219]
v_accvgpr_read_b32 v[vgprValuC+244], acc115 // copy acc to vreg[220]
v_accvgpr_read_b32 v[vgprValuC+245], acc119 // copy acc to vreg[221]
v_accvgpr_read_b32 v[vgprValuC+246], acc123 // copy acc to vreg[222]
v_accvgpr_read_b32 v[vgprValuC+247], acc127 // copy acc to vreg[223]
v_accvgpr_read_b32 v[vgprValuC+248], acc131 // copy acc to vreg[224]
v_accvgpr_read_b32 v[vgprValuC+249], acc135 // copy acc to vreg[225]
v_accvgpr_read_b32 v[vgprValuC+250], acc139 // copy acc to vreg[226]
v_accvgpr_read_b32 v[vgprValuC+251], acc143 // copy acc to vreg[227]
v_accvgpr_read_b32 v[vgprValuC+252], acc147 // copy acc to vreg[228]
v_accvgpr_read_b32 v[vgprValuC+253], acc151 // copy acc to vreg[229]
v_accvgpr_read_b32 v[vgprValuC+254], acc155 // copy acc to vreg[230]
v_accvgpr_read_b32 v[vgprValuC+255], acc159 // copy acc to vreg[231]
s_nop 1                                            // 2 wait states required before reading vgpr

/* apply mask, calc new C and issue writes */
v_mov_b32 v10, 0x207                               // flag for Nan and +/- inf
v_mov_b32 v8, 0x47600000                           // save 57344.0f as max for clipping
v_mov_b32 v9, 0xC7600000                           // save -57344`.0f as min for clipping
v_cmp_class_f32 s[52:53], v[vgprValuC+16], v10     // check NaN and +/-INF
v_med3_f32 v6, v[vgprValuC+16], v8, v9             // Clipping f32 value if exceeds the limit
v_cndmask_b32 v6, v6, v[vgprValuC+16], s[52:53]    // 
v_cmp_class_f32 s[52:53], v[vgprValuC+17], v10     // check NaN and +/-INF
v_med3_f32 v7, v[vgprValuC+17], v8, v9             // Clipping f32 value if exceeds the limit
v_cndmask_b32 v7, v7, v[vgprValuC+17], s[52:53]    // 
v_cvt_pk_bf8_f32  v16, v6, v7 op_sel:[0,0,0]       // convert two f32 accumulated values to fp8 and save it to lo_16[0:15]
v_cmp_class_f32 s[52:53], v[vgprValuC+18], v10     // check NaN and +/-INF
v_med3_f32 v6, v[vgprValuC+18], v8, v9             // Clipping f32 value if exceeds the limit
v_cndmask_b32 v6, v6, v[vgprValuC+18], s[52:53]    // 
v_cmp_class_f32 s[52:53], v[vgprValuC+19], v10     // check NaN and +/-INF
v_med3_f32 v7, v[vgprValuC+19], v8, v9             // Clipping f32 value if exceeds the limit
v_cndmask_b32 v7, v7, v[vgprValuC+19], s[52:53]    // 
v_cvt_pk_bf8_f32  v16, v6, v7 op_sel:[0,0,1]       // convert two f32 accumulated values to fp8 and save it to hi_16[16:31]
v_cmp_class_f32 s[52:53], v[vgprValuC+20], v10     // check NaN and +/-INF
v_med3_f32 v6, v[vgprValuC+20], v8, v9             // Clipping f32 value if exceeds the limit
v_cndmask_b32 v6, v6, v[vgprValuC+20], s[52:53]    // 
v_cmp_class_f32 s[52:53], v[vgprValuC+21], v10     // check NaN and +/-INF
v_med3_f32 v7, v[vgprValuC+21], v8, v9             // Clipping f32 value if exceeds the limit
v_cndmask_b32 v7, v7, v[vgprValuC+21], s[52:53]    // 
v_cvt_pk_bf8_f32  v17, v6, v7 op_sel:[0,0,0]       // convert two f32 accumulated values to fp8 and save it to lo_16[0:15]
v_cmp_class_f32 s[52:53], v[vgprValuC+22], v10     // check NaN and +/-INF
v_med3_f32 v6, v[vgprValuC+22], v8, v9             // Clipping f32 value if exceeds the limit
v_cndmask_b32 v6, v6, v[vgprValuC+22], s[52:53]    // 
v_cmp_class_f32 s[52:53], v[vgprValuC+23], v10     // check NaN and +/-INF
v_med3_f32 v7, v[vgprValuC+23], v8, v9             // Clipping f32 value if exceeds the limit
v_cndmask_b32 v7, v7, v[vgprValuC+23], s[52:53]    // 
v_cvt_pk_bf8_f32  v17, v6, v7 op_sel:[0,0,1]       // convert two f32 accumulated values to fp8 and save it to hi_16[16:31]
_buffer_store_b64 v[16:17], v11, s[sgprSrdD:sgprSrdD+3], 0, offen, offset:0,  sc0 sc1 // store D
v_cmp_class_f32 s[52:53], v[vgprValuC+24], v10     // check NaN and +/-INF
v_med3_f32 v6, v[vgprValuC+24], v8, v9             // Clipping f32 value if exceeds the limit
v_cndmask_b32 v6, v6, v[vgprValuC+24], s[52:53]    // 
v_cmp_class_f32 s[52:53], v[vgprValuC+25], v10     // check NaN and +/-INF
v_med3_f32 v7, v[vgprValuC+25], v8, v9             // Clipping f32 value if exceeds the limit
v_cndmask_b32 v7, v7, v[vgprValuC+25], s[52:53]    // 
v_cvt_pk_bf8_f32  v24, v6, v7 op_sel:[0,0,0]       // convert two f32 accumulated values to fp8 and save it to lo_16[0:15]
v_cmp_class_f32 s[52:53], v[vgprValuC+26], v10     // check NaN and +/-INF
v_med3_f32 v6, v[vgprValuC+26], v8, v9             // Clipping f32 value if exceeds the limit
v_cndmask_b32 v6, v6, v[vgprValuC+26], s[52:53]    // 
v_cmp_class_f32 s[52:53], v[vgprValuC+27], v10     // check NaN and +/-INF
v_med3_f32 v7, v[vgprValuC+27], v8, v9             // Clipping f32 value if exceeds the limit
v_cndmask_b32 v7, v7, v[vgprValuC+27], s[52:53]    // 
v_cvt_pk_bf8_f32  v24, v6, v7 op_sel:[0,0,1]       // convert two f32 accumulated values to fp8 and save it to hi_16[16:31]
v_cmp_class_f32 s[52:53], v[vgprValuC+28], v10     // check NaN and +/-INF
v_med3_f32 v6, v[vgprValuC+28], v8, v9             // Clipping f32 value if exceeds the limit
v_cndmask_b32 v6, v6, v[vgprValuC+28], s[52:53]    // 
v_cmp_class_f32 s[52:53], v[vgprValuC+29], v10     // check NaN and +/-INF
v_med3_f32 v7, v[vgprValuC+29], v8, v9             // Clipping f32 value if exceeds the limit
v_cndmask_b32 v7, v7, v[vgprValuC+29], s[52:53]    // 
v_cvt_pk_bf8_f32  v25, v6, v7 op_sel:[0,0,0]       // convert two f32 accumulated values to fp8 and save it to lo_16[0:15]
v_cmp_class_f32 s[52:53], v[vgprValuC+30], v10     // check NaN and +/-INF
v_med3_f32 v6, v[vgprValuC+30], v8, v9             // Clipping f32 value if exceeds the limit
v_cndmask_b32 v6, v6, v[vgprValuC+30], s[52:53]    // 
v_cmp_class_f32 s[52:53], v[vgprValuC+31], v10     // check NaN and +/-INF
v_med3_f32 v7, v[vgprValuC+31], v8, v9             // Clipping f32 value if exceeds the limit
v_cndmask_b32 v7, v7, v[vgprValuC+31], s[52:53]    // 
v_cvt_pk_bf8_f32  v25, v6, v7 op_sel:[0,0,1]       // convert two f32 accumulated values to fp8 and save it to hi_16[16:31]
s_lshl_b32  s52, s[sgprStrideD1J], 0               // incToNextRow: Scale by BPE
s_add_u32  s[sgprSrdD+0], s[sgprSrdD+0], s52       // incToNextRow: gra SRD += inc(lower)
s_addc_u32  s[sgprSrdD+1], s[sgprSrdD+1], 0        // incToNextRow: gra SRD += inc(upper)
_buffer_store_b64 v[24:25], v11, s[sgprSrdD:sgprSrdD+3], 0, offen, offset:0,  sc0 sc1 // store D
v_cmp_class_f32 s[52:53], v[vgprValuC+32], v10     // check NaN and +/-INF
v_med3_f32 v6, v[vgprValuC+32], v8, v9             // Clipping f32 value if exceeds the limit
v_cndmask_b32 v6, v6, v[vgprValuC+32], s[52:53]    // 
v_cmp_class_f32 s[52:53], v[vgprValuC+33], v10     // check NaN and +/-INF
v_med3_f32 v7, v[vgprValuC+33], v8, v9             // Clipping f32 value if exceeds the limit
v_cndmask_b32 v7, v7, v[vgprValuC+33], s[52:53]    // 
v_cvt_pk_bf8_f32  v32, v6, v7 op_sel:[0,0,0]       // convert two f32 accumulated values to fp8 and save it to lo_16[0:15]
v_cmp_class_f32 s[52:53], v[vgprValuC+34], v10     // check NaN and +/-INF
v_med3_f32 v6, v[vgprValuC+34], v8, v9             // Clipping f32 value if exceeds the limit
v_cndmask_b32 v6, v6, v[vgprValuC+34], s[52:53]    // 
v_cmp_class_f32 s[52:53], v[vgprValuC+35], v10     // check NaN and +/-INF
v_med3_f32 v7, v[vgprValuC+35], v8, v9             // Clipping f32 value if exceeds the limit
v_cndmask_b32 v7, v7, v[vgprValuC+35], s[52:53]    // 
v_cvt_pk_bf8_f32  v32, v6, v7 op_sel:[0,0,1]       // convert two f32 accumulated values to fp8 and save it to hi_16[16:31]
v_cmp_class_f32 s[52:53], v[vgprValuC+36], v10     // check NaN and +/-INF
v_med3_f32 v6, v[vgprValuC+36], v8, v9             // Clipping f32 value if exceeds the limit
v_cndmask_b32 v6, v6, v[vgprValuC+36], s[52:53]    // 
v_cmp_class_f32 s[52:53], v[vgprValuC+37], v10     // check NaN and +/-INF
v_med3_f32 v7, v[vgprValuC+37], v8, v9             // Clipping f32 value if exceeds the limit
v_cndmask_b32 v7, v7, v[vgprValuC+37], s[52:53]    // 
v_cvt_pk_bf8_f32  v33, v6, v7 op_sel:[0,0,0]       // convert two f32 accumulated values to fp8 and save it to lo_16[0:15]
v_cmp_class_f32 s[52:53], v[vgprValuC+38], v10     // check NaN and +/-INF
v_med3_f32 v6, v[vgprValuC+38], v8, v9             // Clipping f32 value if exceeds the limit
v_cndmask_b32 v6, v6, v[vgprValuC+38], s[52:53]    // 
v_cmp_class_f32 s[52:53], v[vgprValuC+39], v10     // check NaN and +/-INF
v_med3_f32 v7, v[vgprValuC+39], v8, v9             // Clipping f32 value if exceeds the limit
v_cndmask_b32 v7, v7, v[vgprValuC+39], s[52:53]    // 
v_cvt_pk_bf8_f32  v33, v6, v7 op_sel:[0,0,1]       // convert two f32 accumulated values to fp8 and save it to hi_16[16:31]
s_lshl_b32  s52, s[sgprStrideD1J], 0               // incToNextRow: Scale by BPE
s_add_u32  s[sgprSrdD+0], s[sgprSrdD+0], s52       // incToNextRow: gra SRD += inc(lower)
s_addc_u32  s[sgprSrdD+1], s[sgprSrdD+1], 0        // incToNextRow: gra SRD += inc(upper)
	;; [unrolled: 32-line block ×9, first 2 shown]
_buffer_store_b64 v[88:89], v11, s[sgprSrdD:sgprSrdD+3], 0, offen, offset:0,  sc0 sc1 // store D
v_cmp_class_f32 s[52:53], v[vgprValuC+96], v10     // check NaN and +/-INF
v_med3_f32 v6, v[vgprValuC+96], v8, v9             // Clipping f32 value if exceeds the limit
v_cndmask_b32 v6, v6, v[vgprValuC+96], s[52:53]    // 
v_cmp_class_f32 s[52:53], v[vgprValuC+97], v10     // check NaN and +/-INF
v_med3_f32 v7, v[vgprValuC+97], v8, v9             // Clipping f32 value if exceeds the limit
v_cndmask_b32 v7, v7, v[vgprValuC+97], s[52:53]    // 
v_cvt_pk_bf8_f32  v96, v6, v7 op_sel:[0,0,0]       // convert two f32 accumulated values to fp8 and save it to lo_16[0:15]
v_cmp_class_f32 s[52:53], v[vgprValuC+98], v10     // check NaN and +/-INF
v_med3_f32 v6, v[vgprValuC+98], v8, v9             // Clipping f32 value if exceeds the limit
v_cndmask_b32 v6, v6, v[vgprValuC+98], s[52:53]    // 
v_cmp_class_f32 s[52:53], v[vgprValuC+99], v10     // check NaN and +/-INF
v_med3_f32 v7, v[vgprValuC+99], v8, v9             // Clipping f32 value if exceeds the limit
v_cndmask_b32 v7, v7, v[vgprValuC+99], s[52:53]    // 
v_cvt_pk_bf8_f32  v96, v6, v7 op_sel:[0,0,1]       // convert two f32 accumulated values to fp8 and save it to hi_16[16:31]
v_cmp_class_f32 s[52:53], v[vgprValuC+100], v10    // check NaN and +/-INF
v_med3_f32 v6, v[vgprValuC+100], v8, v9            // Clipping f32 value if exceeds the limit
v_cndmask_b32 v6, v6, v[vgprValuC+100], s[52:53]   // 
v_cmp_class_f32 s[52:53], v[vgprValuC+101], v10    // check NaN and +/-INF
v_med3_f32 v7, v[vgprValuC+101], v8, v9            // Clipping f32 value if exceeds the limit
v_cndmask_b32 v7, v7, v[vgprValuC+101], s[52:53]   // 
v_cvt_pk_bf8_f32  v97, v6, v7 op_sel:[0,0,0]       // convert two f32 accumulated values to fp8 and save it to lo_16[0:15]
v_cmp_class_f32 s[52:53], v[vgprValuC+102], v10    // check NaN and +/-INF
v_med3_f32 v6, v[vgprValuC+102], v8, v9            // Clipping f32 value if exceeds the limit
v_cndmask_b32 v6, v6, v[vgprValuC+102], s[52:53]   // 
v_cmp_class_f32 s[52:53], v[vgprValuC+103], v10    // check NaN and +/-INF
v_med3_f32 v7, v[vgprValuC+103], v8, v9            // Clipping f32 value if exceeds the limit
v_cndmask_b32 v7, v7, v[vgprValuC+103], s[52:53]   // 
v_cvt_pk_bf8_f32  v97, v6, v7 op_sel:[0,0,1]       // convert two f32 accumulated values to fp8 and save it to hi_16[16:31]
s_lshl_b32  s52, s[sgprStrideD1J], 0               // incToNextRow: Scale by BPE
s_add_u32  s[sgprSrdD+0], s[sgprSrdD+0], s52       // incToNextRow: gra SRD += inc(lower)
s_addc_u32  s[sgprSrdD+1], s[sgprSrdD+1], 0        // incToNextRow: gra SRD += inc(upper)
_buffer_store_b64 v[96:97], v11, s[sgprSrdD:sgprSrdD+3], 0, offen, offset:0,  sc0 sc1 // store D
v_cmp_class_f32 s[52:53], v[vgprValuC+104], v10    // check NaN and +/-INF
v_med3_f32 v6, v[vgprValuC+104], v8, v9            // Clipping f32 value if exceeds the limit
v_cndmask_b32 v6, v6, v[vgprValuC+104], s[52:53]   // 
v_cmp_class_f32 s[52:53], v[vgprValuC+105], v10    // check NaN and +/-INF
v_med3_f32 v7, v[vgprValuC+105], v8, v9            // Clipping f32 value if exceeds the limit
v_cndmask_b32 v7, v7, v[vgprValuC+105], s[52:53]   // 
v_cvt_pk_bf8_f32  v104, v6, v7 op_sel:[0,0,0]      // convert two f32 accumulated values to fp8 and save it to lo_16[0:15]
v_cmp_class_f32 s[52:53], v[vgprValuC+106], v10    // check NaN and +/-INF
v_med3_f32 v6, v[vgprValuC+106], v8, v9            // Clipping f32 value if exceeds the limit
v_cndmask_b32 v6, v6, v[vgprValuC+106], s[52:53]   // 
v_cmp_class_f32 s[52:53], v[vgprValuC+107], v10    // check NaN and +/-INF
v_med3_f32 v7, v[vgprValuC+107], v8, v9            // Clipping f32 value if exceeds the limit
v_cndmask_b32 v7, v7, v[vgprValuC+107], s[52:53]   // 
v_cvt_pk_bf8_f32  v104, v6, v7 op_sel:[0,0,1]      // convert two f32 accumulated values to fp8 and save it to hi_16[16:31]
v_cmp_class_f32 s[52:53], v[vgprValuC+108], v10    // check NaN and +/-INF
v_med3_f32 v6, v[vgprValuC+108], v8, v9            // Clipping f32 value if exceeds the limit
v_cndmask_b32 v6, v6, v[vgprValuC+108], s[52:53]   // 
v_cmp_class_f32 s[52:53], v[vgprValuC+109], v10    // check NaN and +/-INF
v_med3_f32 v7, v[vgprValuC+109], v8, v9            // Clipping f32 value if exceeds the limit
v_cndmask_b32 v7, v7, v[vgprValuC+109], s[52:53]   // 
v_cvt_pk_bf8_f32  v105, v6, v7 op_sel:[0,0,0]      // convert two f32 accumulated values to fp8 and save it to lo_16[0:15]
v_cmp_class_f32 s[52:53], v[vgprValuC+110], v10    // check NaN and +/-INF
v_med3_f32 v6, v[vgprValuC+110], v8, v9            // Clipping f32 value if exceeds the limit
v_cndmask_b32 v6, v6, v[vgprValuC+110], s[52:53]   // 
v_cmp_class_f32 s[52:53], v[vgprValuC+111], v10    // check NaN and +/-INF
v_med3_f32 v7, v[vgprValuC+111], v8, v9            // Clipping f32 value if exceeds the limit
v_cndmask_b32 v7, v7, v[vgprValuC+111], s[52:53]   // 
v_cvt_pk_bf8_f32  v105, v6, v7 op_sel:[0,0,1]      // convert two f32 accumulated values to fp8 and save it to hi_16[16:31]
s_lshl_b32  s52, s[sgprStrideD1J], 0               // incToNextRow: Scale by BPE
s_add_u32  s[sgprSrdD+0], s[sgprSrdD+0], s52       // incToNextRow: gra SRD += inc(lower)
s_addc_u32  s[sgprSrdD+1], s[sgprSrdD+1], 0        // incToNextRow: gra SRD += inc(upper)
_buffer_store_b64 v[104:105], v11, s[sgprSrdD:sgprSrdD+3], 0, offen, offset:0,  sc0 sc1 // store D
v_cmp_class_f32 s[52:53], v[vgprValuC+112], v10    // check NaN and +/-INF
v_med3_f32 v6, v[vgprValuC+112], v8, v9            // Clipping f32 value if exceeds the limit
v_cndmask_b32 v6, v6, v[vgprValuC+112], s[52:53]   // 
v_cmp_class_f32 s[52:53], v[vgprValuC+113], v10    // check NaN and +/-INF
v_med3_f32 v7, v[vgprValuC+113], v8, v9            // Clipping f32 value if exceeds the limit
v_cndmask_b32 v7, v7, v[vgprValuC+113], s[52:53]   // 
v_cvt_pk_bf8_f32  v112, v6, v7 op_sel:[0,0,0]      // convert two f32 accumulated values to fp8 and save it to lo_16[0:15]
v_cmp_class_f32 s[52:53], v[vgprValuC+114], v10    // check NaN and +/-INF
v_med3_f32 v6, v[vgprValuC+114], v8, v9            // Clipping f32 value if exceeds the limit
v_cndmask_b32 v6, v6, v[vgprValuC+114], s[52:53]   // 
v_cmp_class_f32 s[52:53], v[vgprValuC+115], v10    // check NaN and +/-INF
v_med3_f32 v7, v[vgprValuC+115], v8, v9            // Clipping f32 value if exceeds the limit
v_cndmask_b32 v7, v7, v[vgprValuC+115], s[52:53]   // 
v_cvt_pk_bf8_f32  v112, v6, v7 op_sel:[0,0,1]      // convert two f32 accumulated values to fp8 and save it to hi_16[16:31]
v_cmp_class_f32 s[52:53], v[vgprValuC+116], v10    // check NaN and +/-INF
v_med3_f32 v6, v[vgprValuC+116], v8, v9            // Clipping f32 value if exceeds the limit
v_cndmask_b32 v6, v6, v[vgprValuC+116], s[52:53]   // 
v_cmp_class_f32 s[52:53], v[vgprValuC+117], v10    // check NaN and +/-INF
v_med3_f32 v7, v[vgprValuC+117], v8, v9            // Clipping f32 value if exceeds the limit
v_cndmask_b32 v7, v7, v[vgprValuC+117], s[52:53]   // 
v_cvt_pk_bf8_f32  v113, v6, v7 op_sel:[0,0,0]      // convert two f32 accumulated values to fp8 and save it to lo_16[0:15]
v_cmp_class_f32 s[52:53], v[vgprValuC+118], v10    // check NaN and +/-INF
v_med3_f32 v6, v[vgprValuC+118], v8, v9            // Clipping f32 value if exceeds the limit
v_cndmask_b32 v6, v6, v[vgprValuC+118], s[52:53]   // 
v_cmp_class_f32 s[52:53], v[vgprValuC+119], v10    // check NaN and +/-INF
v_med3_f32 v7, v[vgprValuC+119], v8, v9            // Clipping f32 value if exceeds the limit
v_cndmask_b32 v7, v7, v[vgprValuC+119], s[52:53]   // 
v_cvt_pk_bf8_f32  v113, v6, v7 op_sel:[0,0,1]      // convert two f32 accumulated values to fp8 and save it to hi_16[16:31]
	;; [unrolled: 32-line block ×18, first 2 shown]
s_lshl_b32  s52, s[sgprStrideD1J], 0               // incToNextRow: Scale by BPE
s_add_u32  s[sgprSrdD+0], s[sgprSrdD+0], s52       // incToNextRow: gra SRD += inc(lower)
s_addc_u32  s[sgprSrdD+1], s[sgprSrdD+1], 0        // incToNextRow: gra SRD += inc(upper)
_buffer_store_b64 v[248:249], v11, s[sgprSrdD:sgprSrdD+3], 0, offen, offset:0,  sc0 sc1 // store D
s_nop 0                                            // 1 wait state required when next inst writes vgprs held by previous dwordx4 store inst
/* optSingleColVgpr=1 optSharedColVgpr=0 optSGPRUsage=BufferLoad_Mask optSrdIncForRow=1 */

/******************************************/
/* Global Write Batch #1 (d1,d0,vc1,vc0) = */
/*    (0,0,29,0:vw8); (0,0,30,0:vw8); (0,0,31,0:vw8) */
/******************************************/

/* calc coords, apply mask, and issue loads (if necessary) */
/* (d1,vc1,d0,vc0)=(0,29,0,0) */
/* (d1,vc1,d0,vc0)=(0,30,0,0) */
	;; [unrolled: 1-line block ×3, first 2 shown]
v_accvgpr_read_b32 v[vgprValuC+16], acc163 // copy acc to vreg[232]
v_accvgpr_read_b32 v[vgprValuC+17], acc167 // copy acc to vreg[233]
v_accvgpr_read_b32 v[vgprValuC+18], acc171 // copy acc to vreg[234]
v_accvgpr_read_b32 v[vgprValuC+19], acc175 // copy acc to vreg[235]
v_accvgpr_read_b32 v[vgprValuC+20], acc179 // copy acc to vreg[236]
v_accvgpr_read_b32 v[vgprValuC+21], acc183 // copy acc to vreg[237]
v_accvgpr_read_b32 v[vgprValuC+22], acc187 // copy acc to vreg[238]
v_accvgpr_read_b32 v[vgprValuC+23], acc191 // copy acc to vreg[239]
v_accvgpr_read_b32 v[vgprValuC+24], acc195 // copy acc to vreg[240]
v_accvgpr_read_b32 v[vgprValuC+25], acc199 // copy acc to vreg[241]
v_accvgpr_read_b32 v[vgprValuC+26], acc203 // copy acc to vreg[242]
v_accvgpr_read_b32 v[vgprValuC+27], acc207 // copy acc to vreg[243]
v_accvgpr_read_b32 v[vgprValuC+28], acc211 // copy acc to vreg[244]
v_accvgpr_read_b32 v[vgprValuC+29], acc215 // copy acc to vreg[245]
v_accvgpr_read_b32 v[vgprValuC+30], acc219 // copy acc to vreg[246]
v_accvgpr_read_b32 v[vgprValuC+31], acc223 // copy acc to vreg[247]
v_accvgpr_read_b32 v[vgprValuC+32], acc227 // copy acc to vreg[248]
v_accvgpr_read_b32 v[vgprValuC+33], acc231 // copy acc to vreg[249]
v_accvgpr_read_b32 v[vgprValuC+34], acc235 // copy acc to vreg[250]
v_accvgpr_read_b32 v[vgprValuC+35], acc239 // copy acc to vreg[251]
v_accvgpr_read_b32 v[vgprValuC+36], acc243 // copy acc to vreg[252]
v_accvgpr_read_b32 v[vgprValuC+37], acc247 // copy acc to vreg[253]
v_accvgpr_read_b32 v[vgprValuC+38], acc251 // copy acc to vreg[254]
v_accvgpr_read_b32 v[vgprValuC+39], acc255 // copy acc to vreg[255]
s_nop 1                                            // 2 wait states required before reading vgpr

/* apply mask, calc new C and issue writes */
v_mov_b32 v10, 0x207                               // flag for Nan and +/- inf
v_mov_b32 v8, 0x47600000                           // save 57344.0f as max for clipping
v_mov_b32 v9, 0xC7600000                           // save -57344`.0f as min for clipping
v_cmp_class_f32 s[52:53], v[vgprValuC+16], v10     // check NaN and +/-INF
v_med3_f32 v6, v[vgprValuC+16], v8, v9             // Clipping f32 value if exceeds the limit
v_cndmask_b32 v6, v6, v[vgprValuC+16], s[52:53]    // 
v_cmp_class_f32 s[52:53], v[vgprValuC+17], v10     // check NaN and +/-INF
v_med3_f32 v7, v[vgprValuC+17], v8, v9             // Clipping f32 value if exceeds the limit
v_cndmask_b32 v7, v7, v[vgprValuC+17], s[52:53]    // 
v_cvt_pk_bf8_f32  v16, v6, v7 op_sel:[0,0,0]       // convert two f32 accumulated values to fp8 and save it to lo_16[0:15]
v_cmp_class_f32 s[52:53], v[vgprValuC+18], v10     // check NaN and +/-INF
v_med3_f32 v6, v[vgprValuC+18], v8, v9             // Clipping f32 value if exceeds the limit
v_cndmask_b32 v6, v6, v[vgprValuC+18], s[52:53]    // 
v_cmp_class_f32 s[52:53], v[vgprValuC+19], v10     // check NaN and +/-INF
v_med3_f32 v7, v[vgprValuC+19], v8, v9             // Clipping f32 value if exceeds the limit
v_cndmask_b32 v7, v7, v[vgprValuC+19], s[52:53]    // 
v_cvt_pk_bf8_f32  v16, v6, v7 op_sel:[0,0,1]       // convert two f32 accumulated values to fp8 and save it to hi_16[16:31]
v_cmp_class_f32 s[52:53], v[vgprValuC+20], v10     // check NaN and +/-INF
v_med3_f32 v6, v[vgprValuC+20], v8, v9             // Clipping f32 value if exceeds the limit
v_cndmask_b32 v6, v6, v[vgprValuC+20], s[52:53]    // 
v_cmp_class_f32 s[52:53], v[vgprValuC+21], v10     // check NaN and +/-INF
v_med3_f32 v7, v[vgprValuC+21], v8, v9             // Clipping f32 value if exceeds the limit
v_cndmask_b32 v7, v7, v[vgprValuC+21], s[52:53]    // 
v_cvt_pk_bf8_f32  v17, v6, v7 op_sel:[0,0,0]       // convert two f32 accumulated values to fp8 and save it to lo_16[0:15]
v_cmp_class_f32 s[52:53], v[vgprValuC+22], v10     // check NaN and +/-INF
v_med3_f32 v6, v[vgprValuC+22], v8, v9             // Clipping f32 value if exceeds the limit
v_cndmask_b32 v6, v6, v[vgprValuC+22], s[52:53]    // 
v_cmp_class_f32 s[52:53], v[vgprValuC+23], v10     // check NaN and +/-INF
v_med3_f32 v7, v[vgprValuC+23], v8, v9             // Clipping f32 value if exceeds the limit
v_cndmask_b32 v7, v7, v[vgprValuC+23], s[52:53]    // 
v_cvt_pk_bf8_f32  v17, v6, v7 op_sel:[0,0,1]       // convert two f32 accumulated values to fp8 and save it to hi_16[16:31]
s_lshl_b32  s52, s[sgprStrideD1J], 0               // incToNextRow: Scale by BPE
s_add_u32  s[sgprSrdD+0], s[sgprSrdD+0], s52       // incToNextRow: gra SRD += inc(lower)
s_addc_u32  s[sgprSrdD+1], s[sgprSrdD+1], 0        // incToNextRow: gra SRD += inc(upper)
_buffer_store_b64 v[16:17], v11, s[sgprSrdD:sgprSrdD+3], 0, offen, offset:0,  sc0 sc1 // store D
v_cmp_class_f32 s[52:53], v[vgprValuC+24], v10     // check NaN and +/-INF
v_med3_f32 v6, v[vgprValuC+24], v8, v9             // Clipping f32 value if exceeds the limit
v_cndmask_b32 v6, v6, v[vgprValuC+24], s[52:53]    // 
v_cmp_class_f32 s[52:53], v[vgprValuC+25], v10     // check NaN and +/-INF
v_med3_f32 v7, v[vgprValuC+25], v8, v9             // Clipping f32 value if exceeds the limit
v_cndmask_b32 v7, v7, v[vgprValuC+25], s[52:53]    // 
v_cvt_pk_bf8_f32  v24, v6, v7 op_sel:[0,0,0]       // convert two f32 accumulated values to fp8 and save it to lo_16[0:15]
v_cmp_class_f32 s[52:53], v[vgprValuC+26], v10     // check NaN and +/-INF
v_med3_f32 v6, v[vgprValuC+26], v8, v9             // Clipping f32 value if exceeds the limit
v_cndmask_b32 v6, v6, v[vgprValuC+26], s[52:53]    // 
v_cmp_class_f32 s[52:53], v[vgprValuC+27], v10     // check NaN and +/-INF
v_med3_f32 v7, v[vgprValuC+27], v8, v9             // Clipping f32 value if exceeds the limit
v_cndmask_b32 v7, v7, v[vgprValuC+27], s[52:53]    // 
v_cvt_pk_bf8_f32  v24, v6, v7 op_sel:[0,0,1]       // convert two f32 accumulated values to fp8 and save it to hi_16[16:31]
v_cmp_class_f32 s[52:53], v[vgprValuC+28], v10     // check NaN and +/-INF
v_med3_f32 v6, v[vgprValuC+28], v8, v9             // Clipping f32 value if exceeds the limit
v_cndmask_b32 v6, v6, v[vgprValuC+28], s[52:53]    // 
v_cmp_class_f32 s[52:53], v[vgprValuC+29], v10     // check NaN and +/-INF
v_med3_f32 v7, v[vgprValuC+29], v8, v9             // Clipping f32 value if exceeds the limit
v_cndmask_b32 v7, v7, v[vgprValuC+29], s[52:53]    // 
v_cvt_pk_bf8_f32  v25, v6, v7 op_sel:[0,0,0]       // convert two f32 accumulated values to fp8 and save it to lo_16[0:15]
v_cmp_class_f32 s[52:53], v[vgprValuC+30], v10     // check NaN and +/-INF
v_med3_f32 v6, v[vgprValuC+30], v8, v9             // Clipping f32 value if exceeds the limit
v_cndmask_b32 v6, v6, v[vgprValuC+30], s[52:53]    // 
v_cmp_class_f32 s[52:53], v[vgprValuC+31], v10     // check NaN and +/-INF
v_med3_f32 v7, v[vgprValuC+31], v8, v9             // Clipping f32 value if exceeds the limit
v_cndmask_b32 v7, v7, v[vgprValuC+31], s[52:53]    // 
v_cvt_pk_bf8_f32  v25, v6, v7 op_sel:[0,0,1]       // convert two f32 accumulated values to fp8 and save it to hi_16[16:31]
s_lshl_b32  s52, s[sgprStrideD1J], 0               // incToNextRow: Scale by BPE
s_add_u32  s[sgprSrdD+0], s[sgprSrdD+0], s52       // incToNextRow: gra SRD += inc(lower)
s_addc_u32  s[sgprSrdD+1], s[sgprSrdD+1], 0        // incToNextRow: gra SRD += inc(upper)
_buffer_store_b64 v[24:25], v11, s[sgprSrdD:sgprSrdD+3], 0, offen, offset:0,  sc0 sc1 // store D
	;; [unrolled: 32-line block ×3, first 2 shown]
s_nop 0                                            // 1 wait state required when next inst writes vgprs held by previous dwordx4 store inst
s_branch label_GW_End_27                           // jump to end
label_GW_End_27:

s_endpgm                                           // Kernel End
OptNLL_End_17:


/******************************************/
/* Ord. NoLoadLoop - Begin                                      */
/******************************************/


	;; [unrolled: 1-line block ×3, first 2 shown]
/* Tail Loop in NoLoadLoop */
//numIterL = (((sizeL % LOCAL_DEPTHU) + LOCAL_SPLITU - 1) / LOCAL_SPLITU)
s_and_b32 s[sgprLoopCounterL], 127, s[sgprSizesSum+0] // s[sgprLoopCounterL] = s[sgprSizesSum+0] % 128
s_cmp_eq_u32 s[sgprLoopCounterL], 0x0              // numIterL == 0
s_cmov_b32 s[sgprLoopCounterL], 0x80               // Convert 0 to DepthU in tail loop NLL case


	;; [unrolled: 1-line block ×3, first 2 shown]
/* iter 0 (last unrolled loop) */

/*  grEndMfmaIndex:0, lwStartMfmaIndex:229, lwEndMfmaIndex:229  */
/*  numMfmaForLR:21, barrierMfmaIndex:234, LocalWritePerMfma:0.090 */
/*  mfmaIndex:0  */
s_waitcnt lgkmcnt(0)                               // lgkmcnt=0 vmcnt=-1wait for prior local read local write old=0, new=0 newLW=0 newLR=0
/* pack scheduling: packAIdx:6, packBIdx:6 */
v_perm_b32 v[vgprValuA_X0_I0+0], v[vgprValuA_X0_I0_D1+0], v[vgprValuA_X0_I0_D0+0], s[sgprPackKForV0] // select K=01 for vector=0
v_perm_b32 v[vgprPackTemp], v[vgprValuA_X0_I0_D3+0], v[vgprValuA_X0_I0_D2+0], s[sgprPackKForV0] // select K=23 for vector=0
_v_lshl_or_b32 v[vgprValuA_X0_I0+0], v[vgprPackTemp], 0x10, v[vgprValuA_X0_I0+0] // pack two half Vgpr to one Vgpr
v_perm_b32 v[vgprValuA_X0_I0+1], v[vgprValuA_X0_I0_D5+0], v[vgprValuA_X0_I0_D4+0], s[sgprPackKForV0] // select K=45 for vector=0
v_perm_b32 v[vgprPackTemp], v[vgprValuA_X0_I0_D7+0], v[vgprValuA_X0_I0_D6+0], s[sgprPackKForV0] // select K=67 for vector=0
_v_lshl_or_b32 v[vgprValuA_X0_I0+1], v[vgprPackTemp], 0x10, v[vgprValuA_X0_I0+1] // pack two half Vgpr to one Vgpr
v_perm_b32 v[vgprValuB_X0_I0+0], v[vgprValuB_X0_I0_D1+0], v[vgprValuB_X0_I0_D0+0], s[sgprPackKForV0] // select K=01 for vector=0
v_perm_b32 v[vgprPackTemp], v[vgprValuB_X0_I0_D3+0], v[vgprValuB_X0_I0_D2+0], s[sgprPackKForV0] // select K=23 for vector=0
_v_lshl_or_b32 v[vgprValuB_X0_I0+0], v[vgprPackTemp], 0x10, v[vgprValuB_X0_I0+0] // pack two half Vgpr to one Vgpr
v_perm_b32 v[vgprValuB_X0_I0+1], v[vgprValuB_X0_I0_D5+0], v[vgprValuB_X0_I0_D4+0], s[sgprPackKForV0] // select K=45 for vector=0
v_perm_b32 v[vgprPackTemp], v[vgprValuB_X0_I0_D7+0], v[vgprValuB_X0_I0_D6+0], s[sgprPackKForV0] // select K=67 for vector=0
_v_lshl_or_b32 v[vgprValuB_X0_I0+1], v[vgprPackTemp], 0x10, v[vgprValuB_X0_I0+1] // pack two half Vgpr to one Vgpr
v_perm_b32 v[vgprValuA_X0_I0+2], v[vgprValuA_X0_I0_D1+0], v[vgprValuA_X0_I0_D0+0], s[sgprPackKForV1] // select K=01 for vector=1
v_perm_b32 v[vgprPackTemp], v[vgprValuA_X0_I0_D3+0], v[vgprValuA_X0_I0_D2+0], s[sgprPackKForV1] // select K=23 for vector=1
_v_lshl_or_b32 v[vgprValuA_X0_I0+2], v[vgprPackTemp], 0x10, v[vgprValuA_X0_I0+2] // pack two half Vgpr to one Vgpr
v_perm_b32 v[vgprValuA_X0_I0+3], v[vgprValuA_X0_I0_D5+0], v[vgprValuA_X0_I0_D4+0], s[sgprPackKForV1] // select K=45 for vector=1
v_perm_b32 v[vgprPackTemp], v[vgprValuA_X0_I0_D7+0], v[vgprValuA_X0_I0_D6+0], s[sgprPackKForV1] // select K=67 for vector=1
_v_lshl_or_b32 v[vgprValuA_X0_I0+3], v[vgprPackTemp], 0x10, v[vgprValuA_X0_I0+3] // pack two half Vgpr to one Vgpr
s_nop 1
v_mfma_f32_16x16x32_bf8_fp8 a[0+0:3+0], v[vgprValuB_X0_I0+0+0+0:vgprValuB_X0_I0+0+0+0+1], v[vgprValuA_X0_I0+0+0+0:vgprValuA_X0_I0+0+0+0+1], a[0:3]
/*  mfmaIndex:1  */
_ds_load_b64 v[vgprValuA_X1_I0_D0+0:vgprValuA_X1_I0_D0+0+1], v[vgprLocalReadAddrA] offset:8192 // L -> Reg lro=8192 swapByteOffset=0 ti=256 vIdx=0 rIdx=0 oIdx=0 buffer=1 iui=0
/* pack scheduling: packAIdx:12, packBIdx:6 */
v_perm_b32 v[vgprValuA_X0_I0+4], v[vgprValuA_X0_I0_D1+0], v[vgprValuA_X0_I0_D0+0], s[sgprPackKForV2] // select K=01 for vector=2
v_perm_b32 v[vgprPackTemp], v[vgprValuA_X0_I0_D3+0], v[vgprValuA_X0_I0_D2+0], s[sgprPackKForV2] // select K=23 for vector=2
_v_lshl_or_b32 v[vgprValuA_X0_I0+4], v[vgprPackTemp], 0x10, v[vgprValuA_X0_I0+4] // pack two half Vgpr to one Vgpr
v_perm_b32 v[vgprValuA_X0_I0+5], v[vgprValuA_X0_I0_D5+0], v[vgprValuA_X0_I0_D4+0], s[sgprPackKForV2] // select K=45 for vector=2
v_perm_b32 v[vgprPackTemp], v[vgprValuA_X0_I0_D7+0], v[vgprValuA_X0_I0_D6+0], s[sgprPackKForV2] // select K=67 for vector=2
_v_lshl_or_b32 v[vgprValuA_X0_I0+5], v[vgprPackTemp], 0x10, v[vgprValuA_X0_I0+5] // pack two half Vgpr to one Vgpr
v_mfma_f32_16x16x32_bf8_fp8 a[4+0:7+0], v[vgprValuB_X0_I0+0+0+0:vgprValuB_X0_I0+0+0+0+1], v[vgprValuA_X0_I0+2+0+0:vgprValuA_X0_I0+2+0+0+1], a[4:7]
/*  mfmaIndex:2  */
_ds_load_b64 v[vgprValuA_X1_I0_D1+0:vgprValuA_X1_I0_D1+0+1], v[vgprLocalReadAddrA] offset:8448 // L -> Reg lro=8192 swapByteOffset=0 ti=256 vIdx=0 rIdx=1 oIdx=0 buffer=1 iui=0
/* pack scheduling: packAIdx:18, packBIdx:6 */
v_perm_b32 v[vgprValuA_X0_I0+6], v[vgprValuA_X0_I0_D1+0], v[vgprValuA_X0_I0_D0+0], s[sgprPackKForV3] // select K=01 for vector=3
v_perm_b32 v[vgprPackTemp], v[vgprValuA_X0_I0_D3+0], v[vgprValuA_X0_I0_D2+0], s[sgprPackKForV3] // select K=23 for vector=3
_v_lshl_or_b32 v[vgprValuA_X0_I0+6], v[vgprPackTemp], 0x10, v[vgprValuA_X0_I0+6] // pack two half Vgpr to one Vgpr
v_perm_b32 v[vgprValuA_X0_I0+7], v[vgprValuA_X0_I0_D5+0], v[vgprValuA_X0_I0_D4+0], s[sgprPackKForV3] // select K=45 for vector=3
v_perm_b32 v[vgprPackTemp], v[vgprValuA_X0_I0_D7+0], v[vgprValuA_X0_I0_D6+0], s[sgprPackKForV3] // select K=67 for vector=3
_v_lshl_or_b32 v[vgprValuA_X0_I0+7], v[vgprPackTemp], 0x10, v[vgprValuA_X0_I0+7] // pack two half Vgpr to one Vgpr
v_mfma_f32_16x16x32_bf8_fp8 a[8+0:11+0], v[vgprValuB_X0_I0+0+0+0:vgprValuB_X0_I0+0+0+0+1], v[vgprValuA_X0_I0+4+0+0:vgprValuA_X0_I0+4+0+0+1], a[8:11]
/*  mfmaIndex:3  */
_ds_load_b64 v[vgprValuA_X1_I0_D2+0:vgprValuA_X1_I0_D2+0+1], v[vgprLocalReadAddrA] offset:8704 // L -> Reg lro=8192 swapByteOffset=0 ti=256 vIdx=0 rIdx=2 oIdx=0 buffer=1 iui=0
/* pack scheduling: packAIdx:24, packBIdx:6 */
v_perm_b32 v[vgprValuA_X0_I0+8], v[vgprValuA_X0_I0_D1+1], v[vgprValuA_X0_I0_D0+1], s[sgprPackKForV0] // select K=01 for vector=0
v_perm_b32 v[vgprPackTemp], v[vgprValuA_X0_I0_D3+1], v[vgprValuA_X0_I0_D2+1], s[sgprPackKForV0] // select K=23 for vector=0
_v_lshl_or_b32 v[vgprValuA_X0_I0+8], v[vgprPackTemp], 0x10, v[vgprValuA_X0_I0+8] // pack two half Vgpr to one Vgpr
v_perm_b32 v[vgprValuA_X0_I0+9], v[vgprValuA_X0_I0_D5+1], v[vgprValuA_X0_I0_D4+1], s[sgprPackKForV0] // select K=45 for vector=0
v_perm_b32 v[vgprPackTemp], v[vgprValuA_X0_I0_D7+1], v[vgprValuA_X0_I0_D6+1], s[sgprPackKForV0] // select K=67 for vector=0
_v_lshl_or_b32 v[vgprValuA_X0_I0+9], v[vgprPackTemp], 0x10, v[vgprValuA_X0_I0+9] // pack two half Vgpr to one Vgpr
v_mfma_f32_16x16x32_bf8_fp8 a[12+0:15+0], v[vgprValuB_X0_I0+0+0+0:vgprValuB_X0_I0+0+0+0+1], v[vgprValuA_X0_I0+6+0+0:vgprValuA_X0_I0+6+0+0+1], a[12:15]
/*  mfmaIndex:4  */
_ds_load_b64 v[vgprValuA_X1_I0_D3+0:vgprValuA_X1_I0_D3+0+1], v[vgprLocalReadAddrA] offset:8960 // L -> Reg lro=8192 swapByteOffset=0 ti=256 vIdx=0 rIdx=3 oIdx=0 buffer=1 iui=0
/* pack scheduling: packAIdx:30, packBIdx:6 */
v_perm_b32 v[vgprValuA_X0_I0+10], v[vgprValuA_X0_I0_D1+1], v[vgprValuA_X0_I0_D0+1], s[sgprPackKForV1] // select K=01 for vector=1
v_perm_b32 v[vgprPackTemp], v[vgprValuA_X0_I0_D3+1], v[vgprValuA_X0_I0_D2+1], s[sgprPackKForV1] // select K=23 for vector=1
_v_lshl_or_b32 v[vgprValuA_X0_I0+10], v[vgprPackTemp], 0x10, v[vgprValuA_X0_I0+10] // pack two half Vgpr to one Vgpr
v_perm_b32 v[vgprValuA_X0_I0+11], v[vgprValuA_X0_I0_D5+1], v[vgprValuA_X0_I0_D4+1], s[sgprPackKForV1] // select K=45 for vector=1
v_perm_b32 v[vgprPackTemp], v[vgprValuA_X0_I0_D7+1], v[vgprValuA_X0_I0_D6+1], s[sgprPackKForV1] // select K=67 for vector=1
_v_lshl_or_b32 v[vgprValuA_X0_I0+11], v[vgprPackTemp], 0x10, v[vgprValuA_X0_I0+11] // pack two half Vgpr to one Vgpr
v_mfma_f32_16x16x32_bf8_fp8 a[16+0:19+0], v[vgprValuB_X0_I0+0+0+0:vgprValuB_X0_I0+0+0+0+1], v[vgprValuA_X0_I0+8+0+0:vgprValuA_X0_I0+8+0+0+1], a[16:19]
/*  mfmaIndex:5  */
_ds_load_b64 v[vgprValuA_X1_I0_D4+0:vgprValuA_X1_I0_D4+0+1], v[vgprLocalReadAddrA] offset:9216 // L -> Reg lro=8192 swapByteOffset=0 ti=256 vIdx=0 rIdx=4 oIdx=0 buffer=1 iui=0
/* pack scheduling: packAIdx:36, packBIdx:6 */
v_perm_b32 v[vgprValuA_X0_I0+12], v[vgprValuA_X0_I0_D1+1], v[vgprValuA_X0_I0_D0+1], s[sgprPackKForV2] // select K=01 for vector=2
v_perm_b32 v[vgprPackTemp], v[vgprValuA_X0_I0_D3+1], v[vgprValuA_X0_I0_D2+1], s[sgprPackKForV2] // select K=23 for vector=2
_v_lshl_or_b32 v[vgprValuA_X0_I0+12], v[vgprPackTemp], 0x10, v[vgprValuA_X0_I0+12] // pack two half Vgpr to one Vgpr
v_perm_b32 v[vgprValuA_X0_I0+13], v[vgprValuA_X0_I0_D5+1], v[vgprValuA_X0_I0_D4+1], s[sgprPackKForV2] // select K=45 for vector=2
v_perm_b32 v[vgprPackTemp], v[vgprValuA_X0_I0_D7+1], v[vgprValuA_X0_I0_D6+1], s[sgprPackKForV2] // select K=67 for vector=2
_v_lshl_or_b32 v[vgprValuA_X0_I0+13], v[vgprPackTemp], 0x10, v[vgprValuA_X0_I0+13] // pack two half Vgpr to one Vgpr
v_mfma_f32_16x16x32_bf8_fp8 a[20+0:23+0], v[vgprValuB_X0_I0+0+0+0:vgprValuB_X0_I0+0+0+0+1], v[vgprValuA_X0_I0+10+0+0:vgprValuA_X0_I0+10+0+0+1], a[20:23]
/*  mfmaIndex:6  */
_ds_load_b64 v[vgprValuA_X1_I0_D5+0:vgprValuA_X1_I0_D5+0+1], v[vgprLocalReadAddrA] offset:9472 // L -> Reg lro=8192 swapByteOffset=0 ti=256 vIdx=0 rIdx=5 oIdx=0 buffer=1 iui=0
/* pack scheduling: packAIdx:42, packBIdx:6 */
v_perm_b32 v[vgprValuA_X0_I0+14], v[vgprValuA_X0_I0_D1+1], v[vgprValuA_X0_I0_D0+1], s[sgprPackKForV3] // select K=01 for vector=3
v_perm_b32 v[vgprPackTemp], v[vgprValuA_X0_I0_D3+1], v[vgprValuA_X0_I0_D2+1], s[sgprPackKForV3] // select K=23 for vector=3
_v_lshl_or_b32 v[vgprValuA_X0_I0+14], v[vgprPackTemp], 0x10, v[vgprValuA_X0_I0+14] // pack two half Vgpr to one Vgpr
v_perm_b32 v[vgprValuA_X0_I0+15], v[vgprValuA_X0_I0_D5+1], v[vgprValuA_X0_I0_D4+1], s[sgprPackKForV3] // select K=45 for vector=3
v_perm_b32 v[vgprPackTemp], v[vgprValuA_X0_I0_D7+1], v[vgprValuA_X0_I0_D6+1], s[sgprPackKForV3] // select K=67 for vector=3
_v_lshl_or_b32 v[vgprValuA_X0_I0+15], v[vgprPackTemp], 0x10, v[vgprValuA_X0_I0+15] // pack two half Vgpr to one Vgpr
v_mfma_f32_16x16x32_bf8_fp8 a[24+0:27+0], v[vgprValuB_X0_I0+0+0+0:vgprValuB_X0_I0+0+0+0+1], v[vgprValuA_X0_I0+12+0+0:vgprValuA_X0_I0+12+0+0+1], a[24:27]
/*  mfmaIndex:7  */
_ds_load_b64 v[vgprValuA_X1_I0_D6+0:vgprValuA_X1_I0_D6+0+1], v[vgprLocalReadAddrA] offset:9728 // L -> Reg lro=8192 swapByteOffset=0 ti=256 vIdx=0 rIdx=6 oIdx=0 buffer=1 iui=0
/* pack scheduling: packAIdx:48, packBIdx:6 */
v_perm_b32 v[vgprValuB_X0_I0+2], v[vgprValuB_X0_I0_D1+0], v[vgprValuB_X0_I0_D0+0], s[sgprPackKForV1] // select K=01 for vector=1
v_perm_b32 v[vgprPackTemp], v[vgprValuB_X0_I0_D3+0], v[vgprValuB_X0_I0_D2+0], s[sgprPackKForV1] // select K=23 for vector=1
_v_lshl_or_b32 v[vgprValuB_X0_I0+2], v[vgprPackTemp], 0x10, v[vgprValuB_X0_I0+2] // pack two half Vgpr to one Vgpr
v_perm_b32 v[vgprValuB_X0_I0+3], v[vgprValuB_X0_I0_D5+0], v[vgprValuB_X0_I0_D4+0], s[sgprPackKForV1] // select K=45 for vector=1
v_perm_b32 v[vgprPackTemp], v[vgprValuB_X0_I0_D7+0], v[vgprValuB_X0_I0_D6+0], s[sgprPackKForV1] // select K=67 for vector=1
_v_lshl_or_b32 v[vgprValuB_X0_I0+3], v[vgprPackTemp], 0x10, v[vgprValuB_X0_I0+3] // pack two half Vgpr to one Vgpr
v_mfma_f32_16x16x32_bf8_fp8 a[28+0:31+0], v[vgprValuB_X0_I0+0+0+0:vgprValuB_X0_I0+0+0+0+1], v[vgprValuA_X0_I0+14+0+0:vgprValuA_X0_I0+14+0+0+1], a[28:31]
/*  mfmaIndex:8  */
_ds_load_b64 v[vgprValuA_X1_I0_D7+0:vgprValuA_X1_I0_D7+0+1], v[vgprLocalReadAddrA] offset:9984 // L -> Reg lro=8192 swapByteOffset=0 ti=256 vIdx=0 rIdx=7 oIdx=0 buffer=1 iui=0
/* pack scheduling: packAIdx:48, packBIdx:12 */
v_perm_b32 v[vgprValuB_X0_I0+4], v[vgprValuB_X0_I0_D1+0], v[vgprValuB_X0_I0_D0+0], s[sgprPackKForV2] // select K=01 for vector=2
v_perm_b32 v[vgprPackTemp], v[vgprValuB_X0_I0_D3+0], v[vgprValuB_X0_I0_D2+0], s[sgprPackKForV2] // select K=23 for vector=2
_v_lshl_or_b32 v[vgprValuB_X0_I0+4], v[vgprPackTemp], 0x10, v[vgprValuB_X0_I0+4] // pack two half Vgpr to one Vgpr
v_perm_b32 v[vgprValuB_X0_I0+5], v[vgprValuB_X0_I0_D5+0], v[vgprValuB_X0_I0_D4+0], s[sgprPackKForV2] // select K=45 for vector=2
v_perm_b32 v[vgprPackTemp], v[vgprValuB_X0_I0_D7+0], v[vgprValuB_X0_I0_D6+0], s[sgprPackKForV2] // select K=67 for vector=2
_v_lshl_or_b32 v[vgprValuB_X0_I0+5], v[vgprPackTemp], 0x10, v[vgprValuB_X0_I0+5] // pack two half Vgpr to one Vgpr
v_mfma_f32_16x16x32_bf8_fp8 a[60+0:63+0], v[vgprValuB_X0_I0+2+0+0:vgprValuB_X0_I0+2+0+0+1], v[vgprValuA_X0_I0+14+0+0:vgprValuA_X0_I0+14+0+0+1], a[60:63]
/*  mfmaIndex:9  */
_ds_load_b64 v[vgprValuB_X1_I0_D0+0:vgprValuB_X1_I0_D0+0+1], v[vgprLocalReadAddrB] offset:8192 // L -> Reg lro=8192 swapByteOffset=0 ti=256 vIdx=0 rIdx=0 oIdx=0 buffer=1 iui=0
/* pack scheduling: packAIdx:48, packBIdx:12 */
v_perm_b32 v[vgprValuB_X0_I0+6], v[vgprValuB_X0_I0_D1+0], v[vgprValuB_X0_I0_D0+0], s[sgprPackKForV3] // select K=01 for vector=3
v_perm_b32 v[vgprPackTemp], v[vgprValuB_X0_I0_D3+0], v[vgprValuB_X0_I0_D2+0], s[sgprPackKForV3] // select K=23 for vector=3
_v_lshl_or_b32 v[vgprValuB_X0_I0+6], v[vgprPackTemp], 0x10, v[vgprValuB_X0_I0+6] // pack two half Vgpr to one Vgpr
v_perm_b32 v[vgprValuB_X0_I0+7], v[vgprValuB_X0_I0_D5+0], v[vgprValuB_X0_I0_D4+0], s[sgprPackKForV3] // select K=45 for vector=3
v_perm_b32 v[vgprPackTemp], v[vgprValuB_X0_I0_D7+0], v[vgprValuB_X0_I0_D6+0], s[sgprPackKForV3] // select K=67 for vector=3
_v_lshl_or_b32 v[vgprValuB_X0_I0+7], v[vgprPackTemp], 0x10, v[vgprValuB_X0_I0+7] // pack two half Vgpr to one Vgpr
v_mfma_f32_16x16x32_bf8_fp8 a[56+0:59+0], v[vgprValuB_X0_I0+2+0+0:vgprValuB_X0_I0+2+0+0+1], v[vgprValuA_X0_I0+12+0+0:vgprValuA_X0_I0+12+0+0+1], a[56:59]
/*  mfmaIndex:10  */
_ds_load_b64 v[vgprValuB_X1_I0_D1+0:vgprValuB_X1_I0_D1+0+1], v[vgprLocalReadAddrB] offset:8448 // L -> Reg lro=8192 swapByteOffset=0 ti=256 vIdx=0 rIdx=1 oIdx=0 buffer=1 iui=0
/* pack scheduling: packAIdx:48, packBIdx:12 */
v_perm_b32 v[vgprValuB_X0_I0+8], v[vgprValuB_X0_I0_D1+1], v[vgprValuB_X0_I0_D0+1], s[sgprPackKForV0] // select K=01 for vector=0
v_perm_b32 v[vgprPackTemp], v[vgprValuB_X0_I0_D3+1], v[vgprValuB_X0_I0_D2+1], s[sgprPackKForV0] // select K=23 for vector=0
_v_lshl_or_b32 v[vgprValuB_X0_I0+8], v[vgprPackTemp], 0x10, v[vgprValuB_X0_I0+8] // pack two half Vgpr to one Vgpr
v_perm_b32 v[vgprValuB_X0_I0+9], v[vgprValuB_X0_I0_D5+1], v[vgprValuB_X0_I0_D4+1], s[sgprPackKForV0] // select K=45 for vector=0
v_perm_b32 v[vgprPackTemp], v[vgprValuB_X0_I0_D7+1], v[vgprValuB_X0_I0_D6+1], s[sgprPackKForV0] // select K=67 for vector=0
_v_lshl_or_b32 v[vgprValuB_X0_I0+9], v[vgprPackTemp], 0x10, v[vgprValuB_X0_I0+9] // pack two half Vgpr to one Vgpr
v_mfma_f32_16x16x32_bf8_fp8 a[52+0:55+0], v[vgprValuB_X0_I0+2+0+0:vgprValuB_X0_I0+2+0+0+1], v[vgprValuA_X0_I0+10+0+0:vgprValuA_X0_I0+10+0+0+1], a[52:55]
/*  mfmaIndex:11  */
_ds_load_b64 v[vgprValuB_X1_I0_D2+0:vgprValuB_X1_I0_D2+0+1], v[vgprLocalReadAddrB] offset:8704 // L -> Reg lro=8192 swapByteOffset=0 ti=256 vIdx=0 rIdx=2 oIdx=0 buffer=1 iui=0
/* pack scheduling: packAIdx:48, packBIdx:12 */
v_perm_b32 v[vgprValuB_X0_I0+10], v[vgprValuB_X0_I0_D1+1], v[vgprValuB_X0_I0_D0+1], s[sgprPackKForV1] // select K=01 for vector=1
v_perm_b32 v[vgprPackTemp], v[vgprValuB_X0_I0_D3+1], v[vgprValuB_X0_I0_D2+1], s[sgprPackKForV1] // select K=23 for vector=1
_v_lshl_or_b32 v[vgprValuB_X0_I0+10], v[vgprPackTemp], 0x10, v[vgprValuB_X0_I0+10] // pack two half Vgpr to one Vgpr
v_perm_b32 v[vgprValuB_X0_I0+11], v[vgprValuB_X0_I0_D5+1], v[vgprValuB_X0_I0_D4+1], s[sgprPackKForV1] // select K=45 for vector=1
v_perm_b32 v[vgprPackTemp], v[vgprValuB_X0_I0_D7+1], v[vgprValuB_X0_I0_D6+1], s[sgprPackKForV1] // select K=67 for vector=1
_v_lshl_or_b32 v[vgprValuB_X0_I0+11], v[vgprPackTemp], 0x10, v[vgprValuB_X0_I0+11] // pack two half Vgpr to one Vgpr
v_mfma_f32_16x16x32_bf8_fp8 a[48+0:51+0], v[vgprValuB_X0_I0+2+0+0:vgprValuB_X0_I0+2+0+0+1], v[vgprValuA_X0_I0+8+0+0:vgprValuA_X0_I0+8+0+0+1], a[48:51]
/*  mfmaIndex:12  */
_ds_load_b64 v[vgprValuB_X1_I0_D3+0:vgprValuB_X1_I0_D3+0+1], v[vgprLocalReadAddrB] offset:8960 // L -> Reg lro=8192 swapByteOffset=0 ti=256 vIdx=0 rIdx=3 oIdx=0 buffer=1 iui=0
/* pack scheduling: packAIdx:48, packBIdx:12 */
v_perm_b32 v[vgprValuB_X0_I0+12], v[vgprValuB_X0_I0_D1+1], v[vgprValuB_X0_I0_D0+1], s[sgprPackKForV2] // select K=01 for vector=2
v_perm_b32 v[vgprPackTemp], v[vgprValuB_X0_I0_D3+1], v[vgprValuB_X0_I0_D2+1], s[sgprPackKForV2] // select K=23 for vector=2
_v_lshl_or_b32 v[vgprValuB_X0_I0+12], v[vgprPackTemp], 0x10, v[vgprValuB_X0_I0+12] // pack two half Vgpr to one Vgpr
v_perm_b32 v[vgprValuB_X0_I0+13], v[vgprValuB_X0_I0_D5+1], v[vgprValuB_X0_I0_D4+1], s[sgprPackKForV2] // select K=45 for vector=2
v_perm_b32 v[vgprPackTemp], v[vgprValuB_X0_I0_D7+1], v[vgprValuB_X0_I0_D6+1], s[sgprPackKForV2] // select K=67 for vector=2
_v_lshl_or_b32 v[vgprValuB_X0_I0+13], v[vgprPackTemp], 0x10, v[vgprValuB_X0_I0+13] // pack two half Vgpr to one Vgpr
v_mfma_f32_16x16x32_bf8_fp8 a[44+0:47+0], v[vgprValuB_X0_I0+2+0+0:vgprValuB_X0_I0+2+0+0+1], v[vgprValuA_X0_I0+6+0+0:vgprValuA_X0_I0+6+0+0+1], a[44:47]
/*  mfmaIndex:13  */
_ds_load_b64 v[vgprValuB_X1_I0_D4+0:vgprValuB_X1_I0_D4+0+1], v[vgprLocalReadAddrB] offset:9216 // L -> Reg lro=8192 swapByteOffset=0 ti=256 vIdx=0 rIdx=4 oIdx=0 buffer=1 iui=0
/* pack scheduling: packAIdx:48, packBIdx:12 */
v_perm_b32 v[vgprValuB_X0_I0+14], v[vgprValuB_X0_I0_D1+1], v[vgprValuB_X0_I0_D0+1], s[sgprPackKForV3] // select K=01 for vector=3
v_perm_b32 v[vgprPackTemp], v[vgprValuB_X0_I0_D3+1], v[vgprValuB_X0_I0_D2+1], s[sgprPackKForV3] // select K=23 for vector=3
_v_lshl_or_b32 v[vgprValuB_X0_I0+14], v[vgprPackTemp], 0x10, v[vgprValuB_X0_I0+14] // pack two half Vgpr to one Vgpr
v_perm_b32 v[vgprValuB_X0_I0+15], v[vgprValuB_X0_I0_D5+1], v[vgprValuB_X0_I0_D4+1], s[sgprPackKForV3] // select K=45 for vector=3
v_perm_b32 v[vgprPackTemp], v[vgprValuB_X0_I0_D7+1], v[vgprValuB_X0_I0_D6+1], s[sgprPackKForV3] // select K=67 for vector=3
_v_lshl_or_b32 v[vgprValuB_X0_I0+15], v[vgprPackTemp], 0x10, v[vgprValuB_X0_I0+15] // pack two half Vgpr to one Vgpr
v_mfma_f32_16x16x32_bf8_fp8 a[40+0:43+0], v[vgprValuB_X0_I0+2+0+0:vgprValuB_X0_I0+2+0+0+1], v[vgprValuA_X0_I0+4+0+0:vgprValuA_X0_I0+4+0+0+1], a[40:43]
/*  mfmaIndex:14  */
_ds_load_b64 v[vgprValuB_X1_I0_D5+0:vgprValuB_X1_I0_D5+0+1], v[vgprLocalReadAddrB] offset:9472 // L -> Reg lro=8192 swapByteOffset=0 ti=256 vIdx=0 rIdx=5 oIdx=0 buffer=1 iui=0
v_mfma_f32_16x16x32_bf8_fp8 a[36+0:39+0], v[vgprValuB_X0_I0+2+0+0:vgprValuB_X0_I0+2+0+0+1], v[vgprValuA_X0_I0+2+0+0:vgprValuA_X0_I0+2+0+0+1], a[36:39]
/*  mfmaIndex:15  */
_ds_load_b64 v[vgprValuB_X1_I0_D6+0:vgprValuB_X1_I0_D6+0+1], v[vgprLocalReadAddrB] offset:9728 // L -> Reg lro=8192 swapByteOffset=0 ti=256 vIdx=0 rIdx=6 oIdx=0 buffer=1 iui=0
v_mfma_f32_16x16x32_bf8_fp8 a[32+0:35+0], v[vgprValuB_X0_I0+2+0+0:vgprValuB_X0_I0+2+0+0+1], v[vgprValuA_X0_I0+0+0+0:vgprValuA_X0_I0+0+0+0+1], a[32:35]
/*  mfmaIndex:16  */
_ds_load_b64 v[vgprValuB_X1_I0_D7+0:vgprValuB_X1_I0_D7+0+1], v[vgprLocalReadAddrB] offset:9984 // L -> Reg lro=8192 swapByteOffset=0 ti=256 vIdx=0 rIdx=7 oIdx=0 buffer=1 iui=0
v_mfma_f32_16x16x32_bf8_fp8 a[64+0:67+0], v[vgprValuB_X0_I0+4+0+0:vgprValuB_X0_I0+4+0+0+1], v[vgprValuA_X0_I0+0+0+0:vgprValuA_X0_I0+0+0+0+1], a[64:67]
/*  mfmaIndex:17  */
/* localReadsVacancy: latencyLeft 2 */
_ds_load_b64 v[vgprValuA_X2_I0_D0+0:vgprValuA_X2_I0_D0+0+1], v[vgprLocalReadAddrA] offset:16384 // L -> Reg lro=16384 swapByteOffset=0 ti=256 vIdx=0 rIdx=0 oIdx=0 buffer=2 iui=0
v_mfma_f32_16x16x32_bf8_fp8 a[68+0:71+0], v[vgprValuB_X0_I0+4+0+0:vgprValuB_X0_I0+4+0+0+1], v[vgprValuA_X0_I0+2+0+0:vgprValuA_X0_I0+2+0+0+1], a[68:71]
/*  mfmaIndex:18  */
/* localReadsVacancy: latencyLeft 2 */
_ds_load_b64 v[vgprValuA_X2_I0_D1+0:vgprValuA_X2_I0_D1+0+1], v[vgprLocalReadAddrA] offset:16640 // L -> Reg lro=16384 swapByteOffset=0 ti=256 vIdx=0 rIdx=1 oIdx=0 buffer=2 iui=0
v_mfma_f32_16x16x32_bf8_fp8 a[72+0:75+0], v[vgprValuB_X0_I0+4+0+0:vgprValuB_X0_I0+4+0+0+1], v[vgprValuA_X0_I0+4+0+0:vgprValuA_X0_I0+4+0+0+1], a[72:75]
/*  mfmaIndex:19  */
/* localReadsVacancy: latencyLeft 2 */
_ds_load_b64 v[vgprValuA_X2_I0_D2+0:vgprValuA_X2_I0_D2+0+1], v[vgprLocalReadAddrA] offset:16896 // L -> Reg lro=16384 swapByteOffset=0 ti=256 vIdx=0 rIdx=2 oIdx=0 buffer=2 iui=0
v_mfma_f32_16x16x32_bf8_fp8 a[76+0:79+0], v[vgprValuB_X0_I0+4+0+0:vgprValuB_X0_I0+4+0+0+1], v[vgprValuA_X0_I0+6+0+0:vgprValuA_X0_I0+6+0+0+1], a[76:79]
/*  mfmaIndex:20  */
/* localReadsVacancy: latencyLeft 2 */
_ds_load_b64 v[vgprValuA_X2_I0_D3+0:vgprValuA_X2_I0_D3+0+1], v[vgprLocalReadAddrA] offset:17152 // L -> Reg lro=16384 swapByteOffset=0 ti=256 vIdx=0 rIdx=3 oIdx=0 buffer=2 iui=0
v_mfma_f32_16x16x32_bf8_fp8 a[80+0:83+0], v[vgprValuB_X0_I0+4+0+0:vgprValuB_X0_I0+4+0+0+1], v[vgprValuA_X0_I0+8+0+0:vgprValuA_X0_I0+8+0+0+1], a[80:83]
/*  mfmaIndex:21  */
/* localReadsVacancy: latencyLeft 2 */
_ds_load_b64 v[vgprValuA_X2_I0_D4+0:vgprValuA_X2_I0_D4+0+1], v[vgprLocalReadAddrA] offset:17408 // L -> Reg lro=16384 swapByteOffset=0 ti=256 vIdx=0 rIdx=4 oIdx=0 buffer=2 iui=0
v_mfma_f32_16x16x32_bf8_fp8 a[84+0:87+0], v[vgprValuB_X0_I0+4+0+0:vgprValuB_X0_I0+4+0+0+1], v[vgprValuA_X0_I0+10+0+0:vgprValuA_X0_I0+10+0+0+1], a[84:87]
/*  mfmaIndex:22  */
/* localReadsVacancy: latencyLeft 2 */
_ds_load_b64 v[vgprValuA_X2_I0_D5+0:vgprValuA_X2_I0_D5+0+1], v[vgprLocalReadAddrA] offset:17664 // L -> Reg lro=16384 swapByteOffset=0 ti=256 vIdx=0 rIdx=5 oIdx=0 buffer=2 iui=0
v_mfma_f32_16x16x32_bf8_fp8 a[88+0:91+0], v[vgprValuB_X0_I0+4+0+0:vgprValuB_X0_I0+4+0+0+1], v[vgprValuA_X0_I0+12+0+0:vgprValuA_X0_I0+12+0+0+1], a[88:91]
/*  mfmaIndex:23  */
/* localReadsVacancy: latencyLeft 2 */
_ds_load_b64 v[vgprValuA_X2_I0_D6+0:vgprValuA_X2_I0_D6+0+1], v[vgprLocalReadAddrA] offset:17920 // L -> Reg lro=16384 swapByteOffset=0 ti=256 vIdx=0 rIdx=6 oIdx=0 buffer=2 iui=0
v_mfma_f32_16x16x32_bf8_fp8 a[92+0:95+0], v[vgprValuB_X0_I0+4+0+0:vgprValuB_X0_I0+4+0+0+1], v[vgprValuA_X0_I0+14+0+0:vgprValuA_X0_I0+14+0+0+1], a[92:95]
/*  mfmaIndex:24  */
/* localReadsVacancy: latencyLeft 2 */
_ds_load_b64 v[vgprValuA_X2_I0_D7+0:vgprValuA_X2_I0_D7+0+1], v[vgprLocalReadAddrA] offset:18176 // L -> Reg lro=16384 swapByteOffset=0 ti=256 vIdx=0 rIdx=7 oIdx=0 buffer=2 iui=0
v_mfma_f32_16x16x32_bf8_fp8 a[124+0:127+0], v[vgprValuB_X0_I0+6+0+0:vgprValuB_X0_I0+6+0+0+1], v[vgprValuA_X0_I0+14+0+0:vgprValuA_X0_I0+14+0+0+1], a[124:127]
/*  mfmaIndex:25  */
/* localReadsVacancy: latencyLeft 2 */
_ds_load_b64 v[vgprValuB_X2_I0_D0+0:vgprValuB_X2_I0_D0+0+1], v[vgprLocalReadAddrB] offset:16384 // L -> Reg lro=16384 swapByteOffset=0 ti=256 vIdx=0 rIdx=0 oIdx=0 buffer=2 iui=0
v_mfma_f32_16x16x32_bf8_fp8 a[120+0:123+0], v[vgprValuB_X0_I0+6+0+0:vgprValuB_X0_I0+6+0+0+1], v[vgprValuA_X0_I0+12+0+0:vgprValuA_X0_I0+12+0+0+1], a[120:123]
/*  mfmaIndex:26  */
/* localReadsVacancy: latencyLeft 2 */
_ds_load_b64 v[vgprValuB_X2_I0_D1+0:vgprValuB_X2_I0_D1+0+1], v[vgprLocalReadAddrB] offset:16640 // L -> Reg lro=16384 swapByteOffset=0 ti=256 vIdx=0 rIdx=1 oIdx=0 buffer=2 iui=0
v_mfma_f32_16x16x32_bf8_fp8 a[116+0:119+0], v[vgprValuB_X0_I0+6+0+0:vgprValuB_X0_I0+6+0+0+1], v[vgprValuA_X0_I0+10+0+0:vgprValuA_X0_I0+10+0+0+1], a[116:119]
/*  mfmaIndex:27  */
/* localReadsVacancy: latencyLeft 2 */
_ds_load_b64 v[vgprValuB_X2_I0_D2+0:vgprValuB_X2_I0_D2+0+1], v[vgprLocalReadAddrB] offset:16896 // L -> Reg lro=16384 swapByteOffset=0 ti=256 vIdx=0 rIdx=2 oIdx=0 buffer=2 iui=0
v_mfma_f32_16x16x32_bf8_fp8 a[112+0:115+0], v[vgprValuB_X0_I0+6+0+0:vgprValuB_X0_I0+6+0+0+1], v[vgprValuA_X0_I0+8+0+0:vgprValuA_X0_I0+8+0+0+1], a[112:115]
/*  mfmaIndex:28  */
/* localReadsVacancy: latencyLeft 2 */
_ds_load_b64 v[vgprValuB_X2_I0_D3+0:vgprValuB_X2_I0_D3+0+1], v[vgprLocalReadAddrB] offset:17152 // L -> Reg lro=16384 swapByteOffset=0 ti=256 vIdx=0 rIdx=3 oIdx=0 buffer=2 iui=0
v_mfma_f32_16x16x32_bf8_fp8 a[108+0:111+0], v[vgprValuB_X0_I0+6+0+0:vgprValuB_X0_I0+6+0+0+1], v[vgprValuA_X0_I0+6+0+0:vgprValuA_X0_I0+6+0+0+1], a[108:111]
/*  mfmaIndex:29  */
/* localReadsVacancy: latencyLeft 2 */
_ds_load_b64 v[vgprValuB_X2_I0_D4+0:vgprValuB_X2_I0_D4+0+1], v[vgprLocalReadAddrB] offset:17408 // L -> Reg lro=16384 swapByteOffset=0 ti=256 vIdx=0 rIdx=4 oIdx=0 buffer=2 iui=0
v_mfma_f32_16x16x32_bf8_fp8 a[104+0:107+0], v[vgprValuB_X0_I0+6+0+0:vgprValuB_X0_I0+6+0+0+1], v[vgprValuA_X0_I0+4+0+0:vgprValuA_X0_I0+4+0+0+1], a[104:107]
/*  mfmaIndex:30  */
/* localReadsVacancy: latencyLeft 2 */
_ds_load_b64 v[vgprValuB_X2_I0_D5+0:vgprValuB_X2_I0_D5+0+1], v[vgprLocalReadAddrB] offset:17664 // L -> Reg lro=16384 swapByteOffset=0 ti=256 vIdx=0 rIdx=5 oIdx=0 buffer=2 iui=0
v_mfma_f32_16x16x32_bf8_fp8 a[100+0:103+0], v[vgprValuB_X0_I0+6+0+0:vgprValuB_X0_I0+6+0+0+1], v[vgprValuA_X0_I0+2+0+0:vgprValuA_X0_I0+2+0+0+1], a[100:103]
/*  mfmaIndex:31  */
/* localReadsVacancy: latencyLeft 2 */
_ds_load_b64 v[vgprValuB_X2_I0_D6+0:vgprValuB_X2_I0_D6+0+1], v[vgprLocalReadAddrB] offset:17920 // L -> Reg lro=16384 swapByteOffset=0 ti=256 vIdx=0 rIdx=6 oIdx=0 buffer=2 iui=0
v_mfma_f32_16x16x32_bf8_fp8 a[96+0:99+0], v[vgprValuB_X0_I0+6+0+0:vgprValuB_X0_I0+6+0+0+1], v[vgprValuA_X0_I0+0+0+0:vgprValuA_X0_I0+0+0+0+1], a[96:99]
/*  mfmaIndex:32  */
/* localReadsVacancy: latencyLeft 2 */
_ds_load_b64 v[vgprValuB_X2_I0_D7+0:vgprValuB_X2_I0_D7+0+1], v[vgprLocalReadAddrB] offset:18176 // L -> Reg lro=16384 swapByteOffset=0 ti=256 vIdx=0 rIdx=7 oIdx=0 buffer=2 iui=0
v_mfma_f32_16x16x32_bf8_fp8 a[128+0:131+0], v[vgprValuB_X0_I0+8+0+0:vgprValuB_X0_I0+8+0+0+1], v[vgprValuA_X0_I0+0+0+0:vgprValuA_X0_I0+0+0+0+1], a[128:131]
/*  mfmaIndex:33  */
/* localReadsVacancy: latencyLeft 2 */
_ds_load_b64 v[vgprValuA_X3_I0_D0+0:vgprValuA_X3_I0_D0+0+1], v[vgprLocalReadAddrA] offset:24576 // L -> Reg lro=24576 swapByteOffset=0 ti=256 vIdx=0 rIdx=0 oIdx=0 buffer=3 iui=0
v_mfma_f32_16x16x32_bf8_fp8 a[132+0:135+0], v[vgprValuB_X0_I0+8+0+0:vgprValuB_X0_I0+8+0+0+1], v[vgprValuA_X0_I0+2+0+0:vgprValuA_X0_I0+2+0+0+1], a[132:135]
/*  mfmaIndex:34  */
/* localReadsVacancy: latencyLeft 2 */
_ds_load_b64 v[vgprValuA_X3_I0_D1+0:vgprValuA_X3_I0_D1+0+1], v[vgprLocalReadAddrA] offset:24832 // L -> Reg lro=24576 swapByteOffset=0 ti=256 vIdx=0 rIdx=1 oIdx=0 buffer=3 iui=0
v_mfma_f32_16x16x32_bf8_fp8 a[136+0:139+0], v[vgprValuB_X0_I0+8+0+0:vgprValuB_X0_I0+8+0+0+1], v[vgprValuA_X0_I0+4+0+0:vgprValuA_X0_I0+4+0+0+1], a[136:139]
/*  mfmaIndex:35  */
/* localReadsVacancy: latencyLeft 2 */
_ds_load_b64 v[vgprValuA_X3_I0_D2+0:vgprValuA_X3_I0_D2+0+1], v[vgprLocalReadAddrA] offset:25088 // L -> Reg lro=24576 swapByteOffset=0 ti=256 vIdx=0 rIdx=2 oIdx=0 buffer=3 iui=0
v_mfma_f32_16x16x32_bf8_fp8 a[140+0:143+0], v[vgprValuB_X0_I0+8+0+0:vgprValuB_X0_I0+8+0+0+1], v[vgprValuA_X0_I0+6+0+0:vgprValuA_X0_I0+6+0+0+1], a[140:143]
/*  mfmaIndex:36  */
/* localReadsVacancy: latencyLeft 2 */
_ds_load_b64 v[vgprValuA_X3_I0_D3+0:vgprValuA_X3_I0_D3+0+1], v[vgprLocalReadAddrA] offset:25344 // L -> Reg lro=24576 swapByteOffset=0 ti=256 vIdx=0 rIdx=3 oIdx=0 buffer=3 iui=0
v_mfma_f32_16x16x32_bf8_fp8 a[144+0:147+0], v[vgprValuB_X0_I0+8+0+0:vgprValuB_X0_I0+8+0+0+1], v[vgprValuA_X0_I0+8+0+0:vgprValuA_X0_I0+8+0+0+1], a[144:147]
/*  mfmaIndex:37  */
/* localReadsVacancy: latencyLeft 2 */
_ds_load_b64 v[vgprValuA_X3_I0_D4+0:vgprValuA_X3_I0_D4+0+1], v[vgprLocalReadAddrA] offset:25600 // L -> Reg lro=24576 swapByteOffset=0 ti=256 vIdx=0 rIdx=4 oIdx=0 buffer=3 iui=0
v_mfma_f32_16x16x32_bf8_fp8 a[148+0:151+0], v[vgprValuB_X0_I0+8+0+0:vgprValuB_X0_I0+8+0+0+1], v[vgprValuA_X0_I0+10+0+0:vgprValuA_X0_I0+10+0+0+1], a[148:151]
/*  mfmaIndex:38  */
/* localReadsVacancy: latencyLeft 2 */
_ds_load_b64 v[vgprValuA_X3_I0_D5+0:vgprValuA_X3_I0_D5+0+1], v[vgprLocalReadAddrA] offset:25856 // L -> Reg lro=24576 swapByteOffset=0 ti=256 vIdx=0 rIdx=5 oIdx=0 buffer=3 iui=0
v_mfma_f32_16x16x32_bf8_fp8 a[152+0:155+0], v[vgprValuB_X0_I0+8+0+0:vgprValuB_X0_I0+8+0+0+1], v[vgprValuA_X0_I0+12+0+0:vgprValuA_X0_I0+12+0+0+1], a[152:155]
/*  mfmaIndex:39  */
/* localReadsVacancy: latencyLeft 2 */
_ds_load_b64 v[vgprValuA_X3_I0_D6+0:vgprValuA_X3_I0_D6+0+1], v[vgprLocalReadAddrA] offset:26112 // L -> Reg lro=24576 swapByteOffset=0 ti=256 vIdx=0 rIdx=6 oIdx=0 buffer=3 iui=0
v_mfma_f32_16x16x32_bf8_fp8 a[156+0:159+0], v[vgprValuB_X0_I0+8+0+0:vgprValuB_X0_I0+8+0+0+1], v[vgprValuA_X0_I0+14+0+0:vgprValuA_X0_I0+14+0+0+1], a[156:159]
/*  mfmaIndex:40  */
/* localReadsVacancy: latencyLeft 2 */
_ds_load_b64 v[vgprValuA_X3_I0_D7+0:vgprValuA_X3_I0_D7+0+1], v[vgprLocalReadAddrA] offset:26368 // L -> Reg lro=24576 swapByteOffset=0 ti=256 vIdx=0 rIdx=7 oIdx=0 buffer=3 iui=0
v_mfma_f32_16x16x32_bf8_fp8 a[188+0:191+0], v[vgprValuB_X0_I0+10+0+0:vgprValuB_X0_I0+10+0+0+1], v[vgprValuA_X0_I0+14+0+0:vgprValuA_X0_I0+14+0+0+1], a[188:191]
/*  mfmaIndex:41  */
/* localReadsVacancy: latencyLeft 2 */
_ds_load_b64 v[vgprValuB_X3_I0_D0+0:vgprValuB_X3_I0_D0+0+1], v[vgprLocalReadAddrB] offset:24576 // L -> Reg lro=24576 swapByteOffset=0 ti=256 vIdx=0 rIdx=0 oIdx=0 buffer=3 iui=0
v_mfma_f32_16x16x32_bf8_fp8 a[184+0:187+0], v[vgprValuB_X0_I0+10+0+0:vgprValuB_X0_I0+10+0+0+1], v[vgprValuA_X0_I0+12+0+0:vgprValuA_X0_I0+12+0+0+1], a[184:187]
/*  mfmaIndex:42  */
/* localReadsVacancy: latencyLeft 2 */
_ds_load_b64 v[vgprValuB_X3_I0_D1+0:vgprValuB_X3_I0_D1+0+1], v[vgprLocalReadAddrB] offset:24832 // L -> Reg lro=24576 swapByteOffset=0 ti=256 vIdx=0 rIdx=1 oIdx=0 buffer=3 iui=0
v_mfma_f32_16x16x32_bf8_fp8 a[180+0:183+0], v[vgprValuB_X0_I0+10+0+0:vgprValuB_X0_I0+10+0+0+1], v[vgprValuA_X0_I0+10+0+0:vgprValuA_X0_I0+10+0+0+1], a[180:183]
/*  mfmaIndex:43  */
/* localReadsVacancy: latencyLeft 2 */
_ds_load_b64 v[vgprValuB_X3_I0_D2+0:vgprValuB_X3_I0_D2+0+1], v[vgprLocalReadAddrB] offset:25088 // L -> Reg lro=24576 swapByteOffset=0 ti=256 vIdx=0 rIdx=2 oIdx=0 buffer=3 iui=0
v_mfma_f32_16x16x32_bf8_fp8 a[176+0:179+0], v[vgprValuB_X0_I0+10+0+0:vgprValuB_X0_I0+10+0+0+1], v[vgprValuA_X0_I0+8+0+0:vgprValuA_X0_I0+8+0+0+1], a[176:179]
/*  mfmaIndex:44  */
/* localReadsVacancy: latencyLeft 2 */
_ds_load_b64 v[vgprValuB_X3_I0_D3+0:vgprValuB_X3_I0_D3+0+1], v[vgprLocalReadAddrB] offset:25344 // L -> Reg lro=24576 swapByteOffset=0 ti=256 vIdx=0 rIdx=3 oIdx=0 buffer=3 iui=0
v_mfma_f32_16x16x32_bf8_fp8 a[172+0:175+0], v[vgprValuB_X0_I0+10+0+0:vgprValuB_X0_I0+10+0+0+1], v[vgprValuA_X0_I0+6+0+0:vgprValuA_X0_I0+6+0+0+1], a[172:175]
/*  mfmaIndex:45  */
/* localReadsVacancy: latencyLeft 2 */
_ds_load_b64 v[vgprValuB_X3_I0_D4+0:vgprValuB_X3_I0_D4+0+1], v[vgprLocalReadAddrB] offset:25600 // L -> Reg lro=24576 swapByteOffset=0 ti=256 vIdx=0 rIdx=4 oIdx=0 buffer=3 iui=0
v_mfma_f32_16x16x32_bf8_fp8 a[168+0:171+0], v[vgprValuB_X0_I0+10+0+0:vgprValuB_X0_I0+10+0+0+1], v[vgprValuA_X0_I0+4+0+0:vgprValuA_X0_I0+4+0+0+1], a[168:171]
/*  mfmaIndex:46  */
/* localReadsVacancy: latencyLeft 2 */
_ds_load_b64 v[vgprValuB_X3_I0_D5+0:vgprValuB_X3_I0_D5+0+1], v[vgprLocalReadAddrB] offset:25856 // L -> Reg lro=24576 swapByteOffset=0 ti=256 vIdx=0 rIdx=5 oIdx=0 buffer=3 iui=0
v_mfma_f32_16x16x32_bf8_fp8 a[164+0:167+0], v[vgprValuB_X0_I0+10+0+0:vgprValuB_X0_I0+10+0+0+1], v[vgprValuA_X0_I0+2+0+0:vgprValuA_X0_I0+2+0+0+1], a[164:167]
/*  mfmaIndex:47  */
/* localReadsVacancy: latencyLeft 2 */
_ds_load_b64 v[vgprValuB_X3_I0_D6+0:vgprValuB_X3_I0_D6+0+1], v[vgprLocalReadAddrB] offset:26112 // L -> Reg lro=24576 swapByteOffset=0 ti=256 vIdx=0 rIdx=6 oIdx=0 buffer=3 iui=0
v_mfma_f32_16x16x32_bf8_fp8 a[160+0:163+0], v[vgprValuB_X0_I0+10+0+0:vgprValuB_X0_I0+10+0+0+1], v[vgprValuA_X0_I0+0+0+0:vgprValuA_X0_I0+0+0+0+1], a[160:163]
/*  mfmaIndex:48  */
/* localReadsVacancy: latencyLeft 2 */
_ds_load_b64 v[vgprValuB_X3_I0_D7+0:vgprValuB_X3_I0_D7+0+1], v[vgprLocalReadAddrB] offset:26368 // L -> Reg lro=24576 swapByteOffset=0 ti=256 vIdx=0 rIdx=7 oIdx=0 buffer=3 iui=0
v_mfma_f32_16x16x32_bf8_fp8 a[192+0:195+0], v[vgprValuB_X0_I0+12+0+0:vgprValuB_X0_I0+12+0+0+1], v[vgprValuA_X0_I0+0+0+0:vgprValuA_X0_I0+0+0+0+1], a[192:195]
/*  mfmaIndex:49  */
/* localReadsVacancy: latencyLeft 2 */
v_mfma_f32_16x16x32_bf8_fp8 a[196+0:199+0], v[vgprValuB_X0_I0+12+0+0:vgprValuB_X0_I0+12+0+0+1], v[vgprValuA_X0_I0+2+0+0:vgprValuA_X0_I0+2+0+0+1], a[196:199]
/*  mfmaIndex:50  */
/* localReadsVacancy: latencyLeft 2 */
	;; [unrolled: 3-line block ×15, first 2 shown]
v_mfma_f32_16x16x32_bf8_fp8 a[224+0:227+0], v[vgprValuB_X0_I0+14+0+0:vgprValuB_X0_I0+14+0+0+1], v[vgprValuA_X0_I0+0+0+0:vgprValuA_X0_I0+0+0+0+1], a[224:227]
/* numPrefetchIter=0 */
/* dataAtIterA=-1 numReadsIterA=1 skipReadsIterA=1 readsPerIterA=8 */
/* dataAtIterB=-1 numReadsIterB=1 skipReadsIterB=1 readsPerIterB=8 */


/* closeLoop loopL finalLoop=0 tailLoop=1 */
s_sub_i32 s[sgprLoopCounterL], s[sgprLoopCounterL], 0x20 // dec counterL (tailLoop)
s_add_u32 s[sgprOrigLoopCounter], s[sgprOrigLoopCounter], 0x20 // inc counterL
s_cmp_le_i32 s[sgprLoopCounterL], 0x0              // counterL<=0
s_cbranch_scc1 TailLoopEndL_7                      // exit LoopL


/* iter 1 (last unrolled loop) */

/*  grEndMfmaIndex:0, lwStartMfmaIndex:229, lwEndMfmaIndex:229  */
/*  numMfmaForLR:21, barrierMfmaIndex:234, LocalWritePerMfma:0.090 */
/*  mfmaIndex:64  */
/* localReadsVacancy: latencyLeft 2 */
s_waitcnt lgkmcnt(15)                              // lgkmcnt=0 vmcnt=-1wait for prior local read local write old=16, new=16 newLW=0 newLR=0
/* pack scheduling: packAIdx:6, packBIdx:6 */
v_perm_b32 v[vgprValuA_X1_I0+0], v[vgprValuA_X1_I0_D1+0], v[vgprValuA_X1_I0_D0+0], s[sgprPackKForV0] // select K=01 for vector=0
v_perm_b32 v[vgprPackTemp], v[vgprValuA_X1_I0_D3+0], v[vgprValuA_X1_I0_D2+0], s[sgprPackKForV0] // select K=23 for vector=0
_v_lshl_or_b32 v[vgprValuA_X1_I0+0], v[vgprPackTemp], 0x10, v[vgprValuA_X1_I0+0] // pack two half Vgpr to one Vgpr
v_perm_b32 v[vgprValuA_X1_I0+1], v[vgprValuA_X1_I0_D5+0], v[vgprValuA_X1_I0_D4+0], s[sgprPackKForV0] // select K=45 for vector=0
v_perm_b32 v[vgprPackTemp], v[vgprValuA_X1_I0_D7+0], v[vgprValuA_X1_I0_D6+0], s[sgprPackKForV0] // select K=67 for vector=0
_v_lshl_or_b32 v[vgprValuA_X1_I0+1], v[vgprPackTemp], 0x10, v[vgprValuA_X1_I0+1] // pack two half Vgpr to one Vgpr
v_perm_b32 v[vgprValuB_X1_I0+0], v[vgprValuB_X1_I0_D1+0], v[vgprValuB_X1_I0_D0+0], s[sgprPackKForV0] // select K=01 for vector=0
v_perm_b32 v[vgprPackTemp], v[vgprValuB_X1_I0_D3+0], v[vgprValuB_X1_I0_D2+0], s[sgprPackKForV0] // select K=23 for vector=0
_v_lshl_or_b32 v[vgprValuB_X1_I0+0], v[vgprPackTemp], 0x10, v[vgprValuB_X1_I0+0] // pack two half Vgpr to one Vgpr
v_perm_b32 v[vgprValuB_X1_I0+1], v[vgprValuB_X1_I0_D5+0], v[vgprValuB_X1_I0_D4+0], s[sgprPackKForV0] // select K=45 for vector=0
v_perm_b32 v[vgprPackTemp], v[vgprValuB_X1_I0_D7+0], v[vgprValuB_X1_I0_D6+0], s[sgprPackKForV0] // select K=67 for vector=0
_v_lshl_or_b32 v[vgprValuB_X1_I0+1], v[vgprPackTemp], 0x10, v[vgprValuB_X1_I0+1] // pack two half Vgpr to one Vgpr
v_perm_b32 v[vgprValuA_X1_I0+2], v[vgprValuA_X1_I0_D1+0], v[vgprValuA_X1_I0_D0+0], s[sgprPackKForV1] // select K=01 for vector=1
v_perm_b32 v[vgprPackTemp], v[vgprValuA_X1_I0_D3+0], v[vgprValuA_X1_I0_D2+0], s[sgprPackKForV1] // select K=23 for vector=1
_v_lshl_or_b32 v[vgprValuA_X1_I0+2], v[vgprPackTemp], 0x10, v[vgprValuA_X1_I0+2] // pack two half Vgpr to one Vgpr
v_perm_b32 v[vgprValuA_X1_I0+3], v[vgprValuA_X1_I0_D5+0], v[vgprValuA_X1_I0_D4+0], s[sgprPackKForV1] // select K=45 for vector=1
v_perm_b32 v[vgprPackTemp], v[vgprValuA_X1_I0_D7+0], v[vgprValuA_X1_I0_D6+0], s[sgprPackKForV1] // select K=67 for vector=1
_v_lshl_or_b32 v[vgprValuA_X1_I0+3], v[vgprPackTemp], 0x10, v[vgprValuA_X1_I0+3] // pack two half Vgpr to one Vgpr
s_nop 1
v_mfma_f32_16x16x32_bf8_fp8 a[0+0:3+0], v[vgprValuB_X1_I0+0+0+0:vgprValuB_X1_I0+0+0+0+1], v[vgprValuA_X1_I0+0+0+0:vgprValuA_X1_I0+0+0+0+1], a[0:3]
/*  mfmaIndex:65  */
/* localReadsVacancy: latencyLeft 2 */
/* pack scheduling: packAIdx:12, packBIdx:6 */
v_perm_b32 v[vgprValuA_X1_I0+4], v[vgprValuA_X1_I0_D1+0], v[vgprValuA_X1_I0_D0+0], s[sgprPackKForV2] // select K=01 for vector=2
v_perm_b32 v[vgprPackTemp], v[vgprValuA_X1_I0_D3+0], v[vgprValuA_X1_I0_D2+0], s[sgprPackKForV2] // select K=23 for vector=2
_v_lshl_or_b32 v[vgprValuA_X1_I0+4], v[vgprPackTemp], 0x10, v[vgprValuA_X1_I0+4] // pack two half Vgpr to one Vgpr
v_perm_b32 v[vgprValuA_X1_I0+5], v[vgprValuA_X1_I0_D5+0], v[vgprValuA_X1_I0_D4+0], s[sgprPackKForV2] // select K=45 for vector=2
v_perm_b32 v[vgprPackTemp], v[vgprValuA_X1_I0_D7+0], v[vgprValuA_X1_I0_D6+0], s[sgprPackKForV2] // select K=67 for vector=2
_v_lshl_or_b32 v[vgprValuA_X1_I0+5], v[vgprPackTemp], 0x10, v[vgprValuA_X1_I0+5] // pack two half Vgpr to one Vgpr
v_mfma_f32_16x16x32_bf8_fp8 a[4+0:7+0], v[vgprValuB_X1_I0+0+0+0:vgprValuB_X1_I0+0+0+0+1], v[vgprValuA_X1_I0+2+0+0:vgprValuA_X1_I0+2+0+0+1], a[4:7]
/*  mfmaIndex:66  */
/* localReadsVacancy: latencyLeft 2 */
/* pack scheduling: packAIdx:18, packBIdx:6 */
v_perm_b32 v[vgprValuA_X1_I0+6], v[vgprValuA_X1_I0_D1+0], v[vgprValuA_X1_I0_D0+0], s[sgprPackKForV3] // select K=01 for vector=3
v_perm_b32 v[vgprPackTemp], v[vgprValuA_X1_I0_D3+0], v[vgprValuA_X1_I0_D2+0], s[sgprPackKForV3] // select K=23 for vector=3
_v_lshl_or_b32 v[vgprValuA_X1_I0+6], v[vgprPackTemp], 0x10, v[vgprValuA_X1_I0+6] // pack two half Vgpr to one Vgpr
v_perm_b32 v[vgprValuA_X1_I0+7], v[vgprValuA_X1_I0_D5+0], v[vgprValuA_X1_I0_D4+0], s[sgprPackKForV3] // select K=45 for vector=3
v_perm_b32 v[vgprPackTemp], v[vgprValuA_X1_I0_D7+0], v[vgprValuA_X1_I0_D6+0], s[sgprPackKForV3] // select K=67 for vector=3
_v_lshl_or_b32 v[vgprValuA_X1_I0+7], v[vgprPackTemp], 0x10, v[vgprValuA_X1_I0+7] // pack two half Vgpr to one Vgpr
v_mfma_f32_16x16x32_bf8_fp8 a[8+0:11+0], v[vgprValuB_X1_I0+0+0+0:vgprValuB_X1_I0+0+0+0+1], v[vgprValuA_X1_I0+4+0+0:vgprValuA_X1_I0+4+0+0+1], a[8:11]
/*  mfmaIndex:67  */
/* localReadsVacancy: latencyLeft 2 */
/* pack scheduling: packAIdx:24, packBIdx:6 */
v_perm_b32 v[vgprValuA_X1_I0+8], v[vgprValuA_X1_I0_D1+1], v[vgprValuA_X1_I0_D0+1], s[sgprPackKForV0] // select K=01 for vector=0
v_perm_b32 v[vgprPackTemp], v[vgprValuA_X1_I0_D3+1], v[vgprValuA_X1_I0_D2+1], s[sgprPackKForV0] // select K=23 for vector=0
_v_lshl_or_b32 v[vgprValuA_X1_I0+8], v[vgprPackTemp], 0x10, v[vgprValuA_X1_I0+8] // pack two half Vgpr to one Vgpr
v_perm_b32 v[vgprValuA_X1_I0+9], v[vgprValuA_X1_I0_D5+1], v[vgprValuA_X1_I0_D4+1], s[sgprPackKForV0] // select K=45 for vector=0
v_perm_b32 v[vgprPackTemp], v[vgprValuA_X1_I0_D7+1], v[vgprValuA_X1_I0_D6+1], s[sgprPackKForV0] // select K=67 for vector=0
_v_lshl_or_b32 v[vgprValuA_X1_I0+9], v[vgprPackTemp], 0x10, v[vgprValuA_X1_I0+9] // pack two half Vgpr to one Vgpr
v_mfma_f32_16x16x32_bf8_fp8 a[12+0:15+0], v[vgprValuB_X1_I0+0+0+0:vgprValuB_X1_I0+0+0+0+1], v[vgprValuA_X1_I0+6+0+0:vgprValuA_X1_I0+6+0+0+1], a[12:15]
/*  mfmaIndex:68  */
/* localReadsVacancy: latencyLeft 2 */
/* pack scheduling: packAIdx:30, packBIdx:6 */
v_perm_b32 v[vgprValuA_X1_I0+10], v[vgprValuA_X1_I0_D1+1], v[vgprValuA_X1_I0_D0+1], s[sgprPackKForV1] // select K=01 for vector=1
v_perm_b32 v[vgprPackTemp], v[vgprValuA_X1_I0_D3+1], v[vgprValuA_X1_I0_D2+1], s[sgprPackKForV1] // select K=23 for vector=1
_v_lshl_or_b32 v[vgprValuA_X1_I0+10], v[vgprPackTemp], 0x10, v[vgprValuA_X1_I0+10] // pack two half Vgpr to one Vgpr
v_perm_b32 v[vgprValuA_X1_I0+11], v[vgprValuA_X1_I0_D5+1], v[vgprValuA_X1_I0_D4+1], s[sgprPackKForV1] // select K=45 for vector=1
v_perm_b32 v[vgprPackTemp], v[vgprValuA_X1_I0_D7+1], v[vgprValuA_X1_I0_D6+1], s[sgprPackKForV1] // select K=67 for vector=1
_v_lshl_or_b32 v[vgprValuA_X1_I0+11], v[vgprPackTemp], 0x10, v[vgprValuA_X1_I0+11] // pack two half Vgpr to one Vgpr
v_mfma_f32_16x16x32_bf8_fp8 a[16+0:19+0], v[vgprValuB_X1_I0+0+0+0:vgprValuB_X1_I0+0+0+0+1], v[vgprValuA_X1_I0+8+0+0:vgprValuA_X1_I0+8+0+0+1], a[16:19]
/*  mfmaIndex:69  */
/* localReadsVacancy: latencyLeft 2 */
/* pack scheduling: packAIdx:36, packBIdx:6 */
v_perm_b32 v[vgprValuA_X1_I0+12], v[vgprValuA_X1_I0_D1+1], v[vgprValuA_X1_I0_D0+1], s[sgprPackKForV2] // select K=01 for vector=2
v_perm_b32 v[vgprPackTemp], v[vgprValuA_X1_I0_D3+1], v[vgprValuA_X1_I0_D2+1], s[sgprPackKForV2] // select K=23 for vector=2
_v_lshl_or_b32 v[vgprValuA_X1_I0+12], v[vgprPackTemp], 0x10, v[vgprValuA_X1_I0+12] // pack two half Vgpr to one Vgpr
v_perm_b32 v[vgprValuA_X1_I0+13], v[vgprValuA_X1_I0_D5+1], v[vgprValuA_X1_I0_D4+1], s[sgprPackKForV2] // select K=45 for vector=2
v_perm_b32 v[vgprPackTemp], v[vgprValuA_X1_I0_D7+1], v[vgprValuA_X1_I0_D6+1], s[sgprPackKForV2] // select K=67 for vector=2
_v_lshl_or_b32 v[vgprValuA_X1_I0+13], v[vgprPackTemp], 0x10, v[vgprValuA_X1_I0+13] // pack two half Vgpr to one Vgpr
v_mfma_f32_16x16x32_bf8_fp8 a[20+0:23+0], v[vgprValuB_X1_I0+0+0+0:vgprValuB_X1_I0+0+0+0+1], v[vgprValuA_X1_I0+10+0+0:vgprValuA_X1_I0+10+0+0+1], a[20:23]
/*  mfmaIndex:70  */
/* localReadsVacancy: latencyLeft 2 */
/* pack scheduling: packAIdx:42, packBIdx:6 */
v_perm_b32 v[vgprValuA_X1_I0+14], v[vgprValuA_X1_I0_D1+1], v[vgprValuA_X1_I0_D0+1], s[sgprPackKForV3] // select K=01 for vector=3
v_perm_b32 v[vgprPackTemp], v[vgprValuA_X1_I0_D3+1], v[vgprValuA_X1_I0_D2+1], s[sgprPackKForV3] // select K=23 for vector=3
_v_lshl_or_b32 v[vgprValuA_X1_I0+14], v[vgprPackTemp], 0x10, v[vgprValuA_X1_I0+14] // pack two half Vgpr to one Vgpr
v_perm_b32 v[vgprValuA_X1_I0+15], v[vgprValuA_X1_I0_D5+1], v[vgprValuA_X1_I0_D4+1], s[sgprPackKForV3] // select K=45 for vector=3
v_perm_b32 v[vgprPackTemp], v[vgprValuA_X1_I0_D7+1], v[vgprValuA_X1_I0_D6+1], s[sgprPackKForV3] // select K=67 for vector=3
_v_lshl_or_b32 v[vgprValuA_X1_I0+15], v[vgprPackTemp], 0x10, v[vgprValuA_X1_I0+15] // pack two half Vgpr to one Vgpr
v_mfma_f32_16x16x32_bf8_fp8 a[24+0:27+0], v[vgprValuB_X1_I0+0+0+0:vgprValuB_X1_I0+0+0+0+1], v[vgprValuA_X1_I0+12+0+0:vgprValuA_X1_I0+12+0+0+1], a[24:27]
/*  mfmaIndex:71  */
/* localReadsVacancy: latencyLeft 2 */
/* pack scheduling: packAIdx:48, packBIdx:6 */
v_perm_b32 v[vgprValuB_X1_I0+2], v[vgprValuB_X1_I0_D1+0], v[vgprValuB_X1_I0_D0+0], s[sgprPackKForV1] // select K=01 for vector=1
v_perm_b32 v[vgprPackTemp], v[vgprValuB_X1_I0_D3+0], v[vgprValuB_X1_I0_D2+0], s[sgprPackKForV1] // select K=23 for vector=1
_v_lshl_or_b32 v[vgprValuB_X1_I0+2], v[vgprPackTemp], 0x10, v[vgprValuB_X1_I0+2] // pack two half Vgpr to one Vgpr
v_perm_b32 v[vgprValuB_X1_I0+3], v[vgprValuB_X1_I0_D5+0], v[vgprValuB_X1_I0_D4+0], s[sgprPackKForV1] // select K=45 for vector=1
v_perm_b32 v[vgprPackTemp], v[vgprValuB_X1_I0_D7+0], v[vgprValuB_X1_I0_D6+0], s[sgprPackKForV1] // select K=67 for vector=1
_v_lshl_or_b32 v[vgprValuB_X1_I0+3], v[vgprPackTemp], 0x10, v[vgprValuB_X1_I0+3] // pack two half Vgpr to one Vgpr
v_mfma_f32_16x16x32_bf8_fp8 a[28+0:31+0], v[vgprValuB_X1_I0+0+0+0:vgprValuB_X1_I0+0+0+0+1], v[vgprValuA_X1_I0+14+0+0:vgprValuA_X1_I0+14+0+0+1], a[28:31]
/*  mfmaIndex:72  */
/* localReadsVacancy: latencyLeft 2 */
/* pack scheduling: packAIdx:48, packBIdx:12 */
v_perm_b32 v[vgprValuB_X1_I0+4], v[vgprValuB_X1_I0_D1+0], v[vgprValuB_X1_I0_D0+0], s[sgprPackKForV2] // select K=01 for vector=2
v_perm_b32 v[vgprPackTemp], v[vgprValuB_X1_I0_D3+0], v[vgprValuB_X1_I0_D2+0], s[sgprPackKForV2] // select K=23 for vector=2
_v_lshl_or_b32 v[vgprValuB_X1_I0+4], v[vgprPackTemp], 0x10, v[vgprValuB_X1_I0+4] // pack two half Vgpr to one Vgpr
v_perm_b32 v[vgprValuB_X1_I0+5], v[vgprValuB_X1_I0_D5+0], v[vgprValuB_X1_I0_D4+0], s[sgprPackKForV2] // select K=45 for vector=2
v_perm_b32 v[vgprPackTemp], v[vgprValuB_X1_I0_D7+0], v[vgprValuB_X1_I0_D6+0], s[sgprPackKForV2] // select K=67 for vector=2
_v_lshl_or_b32 v[vgprValuB_X1_I0+5], v[vgprPackTemp], 0x10, v[vgprValuB_X1_I0+5] // pack two half Vgpr to one Vgpr
v_mfma_f32_16x16x32_bf8_fp8 a[60+0:63+0], v[vgprValuB_X1_I0+2+0+0:vgprValuB_X1_I0+2+0+0+1], v[vgprValuA_X1_I0+14+0+0:vgprValuA_X1_I0+14+0+0+1], a[60:63]
/*  mfmaIndex:73  */
/* localReadsVacancy: latencyLeft 2 */
/* pack scheduling: packAIdx:48, packBIdx:12 */
v_perm_b32 v[vgprValuB_X1_I0+6], v[vgprValuB_X1_I0_D1+0], v[vgprValuB_X1_I0_D0+0], s[sgprPackKForV3] // select K=01 for vector=3
v_perm_b32 v[vgprPackTemp], v[vgprValuB_X1_I0_D3+0], v[vgprValuB_X1_I0_D2+0], s[sgprPackKForV3] // select K=23 for vector=3
_v_lshl_or_b32 v[vgprValuB_X1_I0+6], v[vgprPackTemp], 0x10, v[vgprValuB_X1_I0+6] // pack two half Vgpr to one Vgpr
v_perm_b32 v[vgprValuB_X1_I0+7], v[vgprValuB_X1_I0_D5+0], v[vgprValuB_X1_I0_D4+0], s[sgprPackKForV3] // select K=45 for vector=3
v_perm_b32 v[vgprPackTemp], v[vgprValuB_X1_I0_D7+0], v[vgprValuB_X1_I0_D6+0], s[sgprPackKForV3] // select K=67 for vector=3
_v_lshl_or_b32 v[vgprValuB_X1_I0+7], v[vgprPackTemp], 0x10, v[vgprValuB_X1_I0+7] // pack two half Vgpr to one Vgpr
v_mfma_f32_16x16x32_bf8_fp8 a[56+0:59+0], v[vgprValuB_X1_I0+2+0+0:vgprValuB_X1_I0+2+0+0+1], v[vgprValuA_X1_I0+12+0+0:vgprValuA_X1_I0+12+0+0+1], a[56:59]
/*  mfmaIndex:74  */
/* localReadsVacancy: latencyLeft 2 */
/* pack scheduling: packAIdx:48, packBIdx:12 */
v_perm_b32 v[vgprValuB_X1_I0+8], v[vgprValuB_X1_I0_D1+1], v[vgprValuB_X1_I0_D0+1], s[sgprPackKForV0] // select K=01 for vector=0
v_perm_b32 v[vgprPackTemp], v[vgprValuB_X1_I0_D3+1], v[vgprValuB_X1_I0_D2+1], s[sgprPackKForV0] // select K=23 for vector=0
_v_lshl_or_b32 v[vgprValuB_X1_I0+8], v[vgprPackTemp], 0x10, v[vgprValuB_X1_I0+8] // pack two half Vgpr to one Vgpr
v_perm_b32 v[vgprValuB_X1_I0+9], v[vgprValuB_X1_I0_D5+1], v[vgprValuB_X1_I0_D4+1], s[sgprPackKForV0] // select K=45 for vector=0
v_perm_b32 v[vgprPackTemp], v[vgprValuB_X1_I0_D7+1], v[vgprValuB_X1_I0_D6+1], s[sgprPackKForV0] // select K=67 for vector=0
_v_lshl_or_b32 v[vgprValuB_X1_I0+9], v[vgprPackTemp], 0x10, v[vgprValuB_X1_I0+9] // pack two half Vgpr to one Vgpr
v_mfma_f32_16x16x32_bf8_fp8 a[52+0:55+0], v[vgprValuB_X1_I0+2+0+0:vgprValuB_X1_I0+2+0+0+1], v[vgprValuA_X1_I0+10+0+0:vgprValuA_X1_I0+10+0+0+1], a[52:55]
/*  mfmaIndex:75  */
/* localReadsVacancy: latencyLeft 2 */
/* pack scheduling: packAIdx:48, packBIdx:12 */
v_perm_b32 v[vgprValuB_X1_I0+10], v[vgprValuB_X1_I0_D1+1], v[vgprValuB_X1_I0_D0+1], s[sgprPackKForV1] // select K=01 for vector=1
v_perm_b32 v[vgprPackTemp], v[vgprValuB_X1_I0_D3+1], v[vgprValuB_X1_I0_D2+1], s[sgprPackKForV1] // select K=23 for vector=1
_v_lshl_or_b32 v[vgprValuB_X1_I0+10], v[vgprPackTemp], 0x10, v[vgprValuB_X1_I0+10] // pack two half Vgpr to one Vgpr
v_perm_b32 v[vgprValuB_X1_I0+11], v[vgprValuB_X1_I0_D5+1], v[vgprValuB_X1_I0_D4+1], s[sgprPackKForV1] // select K=45 for vector=1
v_perm_b32 v[vgprPackTemp], v[vgprValuB_X1_I0_D7+1], v[vgprValuB_X1_I0_D6+1], s[sgprPackKForV1] // select K=67 for vector=1
_v_lshl_or_b32 v[vgprValuB_X1_I0+11], v[vgprPackTemp], 0x10, v[vgprValuB_X1_I0+11] // pack two half Vgpr to one Vgpr
v_mfma_f32_16x16x32_bf8_fp8 a[48+0:51+0], v[vgprValuB_X1_I0+2+0+0:vgprValuB_X1_I0+2+0+0+1], v[vgprValuA_X1_I0+8+0+0:vgprValuA_X1_I0+8+0+0+1], a[48:51]
/*  mfmaIndex:76  */
/* localReadsVacancy: latencyLeft 2 */
/* pack scheduling: packAIdx:48, packBIdx:12 */
v_perm_b32 v[vgprValuB_X1_I0+12], v[vgprValuB_X1_I0_D1+1], v[vgprValuB_X1_I0_D0+1], s[sgprPackKForV2] // select K=01 for vector=2
v_perm_b32 v[vgprPackTemp], v[vgprValuB_X1_I0_D3+1], v[vgprValuB_X1_I0_D2+1], s[sgprPackKForV2] // select K=23 for vector=2
_v_lshl_or_b32 v[vgprValuB_X1_I0+12], v[vgprPackTemp], 0x10, v[vgprValuB_X1_I0+12] // pack two half Vgpr to one Vgpr
v_perm_b32 v[vgprValuB_X1_I0+13], v[vgprValuB_X1_I0_D5+1], v[vgprValuB_X1_I0_D4+1], s[sgprPackKForV2] // select K=45 for vector=2
v_perm_b32 v[vgprPackTemp], v[vgprValuB_X1_I0_D7+1], v[vgprValuB_X1_I0_D6+1], s[sgprPackKForV2] // select K=67 for vector=2
_v_lshl_or_b32 v[vgprValuB_X1_I0+13], v[vgprPackTemp], 0x10, v[vgprValuB_X1_I0+13] // pack two half Vgpr to one Vgpr
v_mfma_f32_16x16x32_bf8_fp8 a[44+0:47+0], v[vgprValuB_X1_I0+2+0+0:vgprValuB_X1_I0+2+0+0+1], v[vgprValuA_X1_I0+6+0+0:vgprValuA_X1_I0+6+0+0+1], a[44:47]
/*  mfmaIndex:77  */
/* localReadsVacancy: latencyLeft 2 */
/* pack scheduling: packAIdx:48, packBIdx:12 */
v_perm_b32 v[vgprValuB_X1_I0+14], v[vgprValuB_X1_I0_D1+1], v[vgprValuB_X1_I0_D0+1], s[sgprPackKForV3] // select K=01 for vector=3
v_perm_b32 v[vgprPackTemp], v[vgprValuB_X1_I0_D3+1], v[vgprValuB_X1_I0_D2+1], s[sgprPackKForV3] // select K=23 for vector=3
_v_lshl_or_b32 v[vgprValuB_X1_I0+14], v[vgprPackTemp], 0x10, v[vgprValuB_X1_I0+14] // pack two half Vgpr to one Vgpr
v_perm_b32 v[vgprValuB_X1_I0+15], v[vgprValuB_X1_I0_D5+1], v[vgprValuB_X1_I0_D4+1], s[sgprPackKForV3] // select K=45 for vector=3
v_perm_b32 v[vgprPackTemp], v[vgprValuB_X1_I0_D7+1], v[vgprValuB_X1_I0_D6+1], s[sgprPackKForV3] // select K=67 for vector=3
_v_lshl_or_b32 v[vgprValuB_X1_I0+15], v[vgprPackTemp], 0x10, v[vgprValuB_X1_I0+15] // pack two half Vgpr to one Vgpr
v_mfma_f32_16x16x32_bf8_fp8 a[40+0:43+0], v[vgprValuB_X1_I0+2+0+0:vgprValuB_X1_I0+2+0+0+1], v[vgprValuA_X1_I0+4+0+0:vgprValuA_X1_I0+4+0+0+1], a[40:43]
/*  mfmaIndex:78  */
/* localReadsVacancy: latencyLeft 2 */
v_mfma_f32_16x16x32_bf8_fp8 a[36+0:39+0], v[vgprValuB_X1_I0+2+0+0:vgprValuB_X1_I0+2+0+0+1], v[vgprValuA_X1_I0+2+0+0:vgprValuA_X1_I0+2+0+0+1], a[36:39]
/*  mfmaIndex:79  */
/* localReadsVacancy: latencyLeft 2 */
	;; [unrolled: 3-line block ×50, first 2 shown]
v_mfma_f32_16x16x32_bf8_fp8 a[224+0:227+0], v[vgprValuB_X1_I0+14+0+0:vgprValuB_X1_I0+14+0+0+1], v[vgprValuA_X1_I0+0+0+0:vgprValuA_X1_I0+0+0+0+1], a[224:227]
/* numPrefetchIter=0 */
/* dataAtIterA=0 numReadsIterA=2 skipReadsIterA=1 readsPerIterA=8 */
/* dataAtIterB=0 numReadsIterB=2 skipReadsIterB=1 readsPerIterB=8 */


/* closeLoop loopL finalLoop=0 tailLoop=1 */
s_sub_i32 s[sgprLoopCounterL], s[sgprLoopCounterL], 0x20 // dec counterL (tailLoop)
s_add_u32 s[sgprOrigLoopCounter], s[sgprOrigLoopCounter], 0x20 // inc counterL
s_cmp_le_i32 s[sgprLoopCounterL], 0x0              // counterL<=0
s_cbranch_scc1 TailLoopEndL_7                      // exit LoopL


/* iter 2 (last unrolled loop) */

/*  grEndMfmaIndex:0, lwStartMfmaIndex:229, lwEndMfmaIndex:229  */
/*  numMfmaForLR:21, barrierMfmaIndex:234, LocalWritePerMfma:0.090 */
/*  mfmaIndex:128  */
/* localReadsVacancy: latencyLeft 2 */
s_waitcnt lgkmcnt(0)                               // lgkmcnt=0 vmcnt=-1wait for prior local read local write old=0, new=0 newLW=0 newLR=0
/* pack scheduling: packAIdx:6, packBIdx:6 */
v_perm_b32 v[vgprValuA_X2_I0+0], v[vgprValuA_X2_I0_D1+0], v[vgprValuA_X2_I0_D0+0], s[sgprPackKForV0] // select K=01 for vector=0
v_perm_b32 v[vgprPackTemp], v[vgprValuA_X2_I0_D3+0], v[vgprValuA_X2_I0_D2+0], s[sgprPackKForV0] // select K=23 for vector=0
_v_lshl_or_b32 v[vgprValuA_X2_I0+0], v[vgprPackTemp], 0x10, v[vgprValuA_X2_I0+0] // pack two half Vgpr to one Vgpr
v_perm_b32 v[vgprValuA_X2_I0+1], v[vgprValuA_X2_I0_D5+0], v[vgprValuA_X2_I0_D4+0], s[sgprPackKForV0] // select K=45 for vector=0
v_perm_b32 v[vgprPackTemp], v[vgprValuA_X2_I0_D7+0], v[vgprValuA_X2_I0_D6+0], s[sgprPackKForV0] // select K=67 for vector=0
_v_lshl_or_b32 v[vgprValuA_X2_I0+1], v[vgprPackTemp], 0x10, v[vgprValuA_X2_I0+1] // pack two half Vgpr to one Vgpr
v_perm_b32 v[vgprValuB_X2_I0+0], v[vgprValuB_X2_I0_D1+0], v[vgprValuB_X2_I0_D0+0], s[sgprPackKForV0] // select K=01 for vector=0
v_perm_b32 v[vgprPackTemp], v[vgprValuB_X2_I0_D3+0], v[vgprValuB_X2_I0_D2+0], s[sgprPackKForV0] // select K=23 for vector=0
_v_lshl_or_b32 v[vgprValuB_X2_I0+0], v[vgprPackTemp], 0x10, v[vgprValuB_X2_I0+0] // pack two half Vgpr to one Vgpr
v_perm_b32 v[vgprValuB_X2_I0+1], v[vgprValuB_X2_I0_D5+0], v[vgprValuB_X2_I0_D4+0], s[sgprPackKForV0] // select K=45 for vector=0
v_perm_b32 v[vgprPackTemp], v[vgprValuB_X2_I0_D7+0], v[vgprValuB_X2_I0_D6+0], s[sgprPackKForV0] // select K=67 for vector=0
_v_lshl_or_b32 v[vgprValuB_X2_I0+1], v[vgprPackTemp], 0x10, v[vgprValuB_X2_I0+1] // pack two half Vgpr to one Vgpr
v_perm_b32 v[vgprValuA_X2_I0+2], v[vgprValuA_X2_I0_D1+0], v[vgprValuA_X2_I0_D0+0], s[sgprPackKForV1] // select K=01 for vector=1
v_perm_b32 v[vgprPackTemp], v[vgprValuA_X2_I0_D3+0], v[vgprValuA_X2_I0_D2+0], s[sgprPackKForV1] // select K=23 for vector=1
_v_lshl_or_b32 v[vgprValuA_X2_I0+2], v[vgprPackTemp], 0x10, v[vgprValuA_X2_I0+2] // pack two half Vgpr to one Vgpr
v_perm_b32 v[vgprValuA_X2_I0+3], v[vgprValuA_X2_I0_D5+0], v[vgprValuA_X2_I0_D4+0], s[sgprPackKForV1] // select K=45 for vector=1
v_perm_b32 v[vgprPackTemp], v[vgprValuA_X2_I0_D7+0], v[vgprValuA_X2_I0_D6+0], s[sgprPackKForV1] // select K=67 for vector=1
_v_lshl_or_b32 v[vgprValuA_X2_I0+3], v[vgprPackTemp], 0x10, v[vgprValuA_X2_I0+3] // pack two half Vgpr to one Vgpr
s_nop 1
v_mfma_f32_16x16x32_bf8_fp8 a[0+0:3+0], v[vgprValuB_X2_I0+0+0+0:vgprValuB_X2_I0+0+0+0+1], v[vgprValuA_X2_I0+0+0+0:vgprValuA_X2_I0+0+0+0+1], a[0:3]
/*  mfmaIndex:129  */
/* localReadsVacancy: latencyLeft 2 */
/* pack scheduling: packAIdx:12, packBIdx:6 */
v_perm_b32 v[vgprValuA_X2_I0+4], v[vgprValuA_X2_I0_D1+0], v[vgprValuA_X2_I0_D0+0], s[sgprPackKForV2] // select K=01 for vector=2
v_perm_b32 v[vgprPackTemp], v[vgprValuA_X2_I0_D3+0], v[vgprValuA_X2_I0_D2+0], s[sgprPackKForV2] // select K=23 for vector=2
_v_lshl_or_b32 v[vgprValuA_X2_I0+4], v[vgprPackTemp], 0x10, v[vgprValuA_X2_I0+4] // pack two half Vgpr to one Vgpr
v_perm_b32 v[vgprValuA_X2_I0+5], v[vgprValuA_X2_I0_D5+0], v[vgprValuA_X2_I0_D4+0], s[sgprPackKForV2] // select K=45 for vector=2
v_perm_b32 v[vgprPackTemp], v[vgprValuA_X2_I0_D7+0], v[vgprValuA_X2_I0_D6+0], s[sgprPackKForV2] // select K=67 for vector=2
_v_lshl_or_b32 v[vgprValuA_X2_I0+5], v[vgprPackTemp], 0x10, v[vgprValuA_X2_I0+5] // pack two half Vgpr to one Vgpr
v_mfma_f32_16x16x32_bf8_fp8 a[4+0:7+0], v[vgprValuB_X2_I0+0+0+0:vgprValuB_X2_I0+0+0+0+1], v[vgprValuA_X2_I0+2+0+0:vgprValuA_X2_I0+2+0+0+1], a[4:7]
/*  mfmaIndex:130  */
/* localReadsVacancy: latencyLeft 2 */
/* pack scheduling: packAIdx:18, packBIdx:6 */
v_perm_b32 v[vgprValuA_X2_I0+6], v[vgprValuA_X2_I0_D1+0], v[vgprValuA_X2_I0_D0+0], s[sgprPackKForV3] // select K=01 for vector=3
v_perm_b32 v[vgprPackTemp], v[vgprValuA_X2_I0_D3+0], v[vgprValuA_X2_I0_D2+0], s[sgprPackKForV3] // select K=23 for vector=3
_v_lshl_or_b32 v[vgprValuA_X2_I0+6], v[vgprPackTemp], 0x10, v[vgprValuA_X2_I0+6] // pack two half Vgpr to one Vgpr
v_perm_b32 v[vgprValuA_X2_I0+7], v[vgprValuA_X2_I0_D5+0], v[vgprValuA_X2_I0_D4+0], s[sgprPackKForV3] // select K=45 for vector=3
v_perm_b32 v[vgprPackTemp], v[vgprValuA_X2_I0_D7+0], v[vgprValuA_X2_I0_D6+0], s[sgprPackKForV3] // select K=67 for vector=3
_v_lshl_or_b32 v[vgprValuA_X2_I0+7], v[vgprPackTemp], 0x10, v[vgprValuA_X2_I0+7] // pack two half Vgpr to one Vgpr
v_mfma_f32_16x16x32_bf8_fp8 a[8+0:11+0], v[vgprValuB_X2_I0+0+0+0:vgprValuB_X2_I0+0+0+0+1], v[vgprValuA_X2_I0+4+0+0:vgprValuA_X2_I0+4+0+0+1], a[8:11]
/*  mfmaIndex:131  */
/* localReadsVacancy: latencyLeft 2 */
/* pack scheduling: packAIdx:24, packBIdx:6 */
v_perm_b32 v[vgprValuA_X2_I0+8], v[vgprValuA_X2_I0_D1+1], v[vgprValuA_X2_I0_D0+1], s[sgprPackKForV0] // select K=01 for vector=0
v_perm_b32 v[vgprPackTemp], v[vgprValuA_X2_I0_D3+1], v[vgprValuA_X2_I0_D2+1], s[sgprPackKForV0] // select K=23 for vector=0
_v_lshl_or_b32 v[vgprValuA_X2_I0+8], v[vgprPackTemp], 0x10, v[vgprValuA_X2_I0+8] // pack two half Vgpr to one Vgpr
v_perm_b32 v[vgprValuA_X2_I0+9], v[vgprValuA_X2_I0_D5+1], v[vgprValuA_X2_I0_D4+1], s[sgprPackKForV0] // select K=45 for vector=0
v_perm_b32 v[vgprPackTemp], v[vgprValuA_X2_I0_D7+1], v[vgprValuA_X2_I0_D6+1], s[sgprPackKForV0] // select K=67 for vector=0
_v_lshl_or_b32 v[vgprValuA_X2_I0+9], v[vgprPackTemp], 0x10, v[vgprValuA_X2_I0+9] // pack two half Vgpr to one Vgpr
v_mfma_f32_16x16x32_bf8_fp8 a[12+0:15+0], v[vgprValuB_X2_I0+0+0+0:vgprValuB_X2_I0+0+0+0+1], v[vgprValuA_X2_I0+6+0+0:vgprValuA_X2_I0+6+0+0+1], a[12:15]
/*  mfmaIndex:132  */
/* localReadsVacancy: latencyLeft 2 */
/* pack scheduling: packAIdx:30, packBIdx:6 */
v_perm_b32 v[vgprValuA_X2_I0+10], v[vgprValuA_X2_I0_D1+1], v[vgprValuA_X2_I0_D0+1], s[sgprPackKForV1] // select K=01 for vector=1
v_perm_b32 v[vgprPackTemp], v[vgprValuA_X2_I0_D3+1], v[vgprValuA_X2_I0_D2+1], s[sgprPackKForV1] // select K=23 for vector=1
_v_lshl_or_b32 v[vgprValuA_X2_I0+10], v[vgprPackTemp], 0x10, v[vgprValuA_X2_I0+10] // pack two half Vgpr to one Vgpr
v_perm_b32 v[vgprValuA_X2_I0+11], v[vgprValuA_X2_I0_D5+1], v[vgprValuA_X2_I0_D4+1], s[sgprPackKForV1] // select K=45 for vector=1
v_perm_b32 v[vgprPackTemp], v[vgprValuA_X2_I0_D7+1], v[vgprValuA_X2_I0_D6+1], s[sgprPackKForV1] // select K=67 for vector=1
_v_lshl_or_b32 v[vgprValuA_X2_I0+11], v[vgprPackTemp], 0x10, v[vgprValuA_X2_I0+11] // pack two half Vgpr to one Vgpr
v_mfma_f32_16x16x32_bf8_fp8 a[16+0:19+0], v[vgprValuB_X2_I0+0+0+0:vgprValuB_X2_I0+0+0+0+1], v[vgprValuA_X2_I0+8+0+0:vgprValuA_X2_I0+8+0+0+1], a[16:19]
/*  mfmaIndex:133  */
/* localReadsVacancy: latencyLeft 2 */
/* pack scheduling: packAIdx:36, packBIdx:6 */
v_perm_b32 v[vgprValuA_X2_I0+12], v[vgprValuA_X2_I0_D1+1], v[vgprValuA_X2_I0_D0+1], s[sgprPackKForV2] // select K=01 for vector=2
v_perm_b32 v[vgprPackTemp], v[vgprValuA_X2_I0_D3+1], v[vgprValuA_X2_I0_D2+1], s[sgprPackKForV2] // select K=23 for vector=2
_v_lshl_or_b32 v[vgprValuA_X2_I0+12], v[vgprPackTemp], 0x10, v[vgprValuA_X2_I0+12] // pack two half Vgpr to one Vgpr
v_perm_b32 v[vgprValuA_X2_I0+13], v[vgprValuA_X2_I0_D5+1], v[vgprValuA_X2_I0_D4+1], s[sgprPackKForV2] // select K=45 for vector=2
v_perm_b32 v[vgprPackTemp], v[vgprValuA_X2_I0_D7+1], v[vgprValuA_X2_I0_D6+1], s[sgprPackKForV2] // select K=67 for vector=2
_v_lshl_or_b32 v[vgprValuA_X2_I0+13], v[vgprPackTemp], 0x10, v[vgprValuA_X2_I0+13] // pack two half Vgpr to one Vgpr
v_mfma_f32_16x16x32_bf8_fp8 a[20+0:23+0], v[vgprValuB_X2_I0+0+0+0:vgprValuB_X2_I0+0+0+0+1], v[vgprValuA_X2_I0+10+0+0:vgprValuA_X2_I0+10+0+0+1], a[20:23]
/*  mfmaIndex:134  */
/* localReadsVacancy: latencyLeft 2 */
/* pack scheduling: packAIdx:42, packBIdx:6 */
v_perm_b32 v[vgprValuA_X2_I0+14], v[vgprValuA_X2_I0_D1+1], v[vgprValuA_X2_I0_D0+1], s[sgprPackKForV3] // select K=01 for vector=3
v_perm_b32 v[vgprPackTemp], v[vgprValuA_X2_I0_D3+1], v[vgprValuA_X2_I0_D2+1], s[sgprPackKForV3] // select K=23 for vector=3
_v_lshl_or_b32 v[vgprValuA_X2_I0+14], v[vgprPackTemp], 0x10, v[vgprValuA_X2_I0+14] // pack two half Vgpr to one Vgpr
v_perm_b32 v[vgprValuA_X2_I0+15], v[vgprValuA_X2_I0_D5+1], v[vgprValuA_X2_I0_D4+1], s[sgprPackKForV3] // select K=45 for vector=3
v_perm_b32 v[vgprPackTemp], v[vgprValuA_X2_I0_D7+1], v[vgprValuA_X2_I0_D6+1], s[sgprPackKForV3] // select K=67 for vector=3
_v_lshl_or_b32 v[vgprValuA_X2_I0+15], v[vgprPackTemp], 0x10, v[vgprValuA_X2_I0+15] // pack two half Vgpr to one Vgpr
v_mfma_f32_16x16x32_bf8_fp8 a[24+0:27+0], v[vgprValuB_X2_I0+0+0+0:vgprValuB_X2_I0+0+0+0+1], v[vgprValuA_X2_I0+12+0+0:vgprValuA_X2_I0+12+0+0+1], a[24:27]
/*  mfmaIndex:135  */
/* localReadsVacancy: latencyLeft 2 */
/* pack scheduling: packAIdx:48, packBIdx:6 */
v_perm_b32 v[vgprValuB_X2_I0+2], v[vgprValuB_X2_I0_D1+0], v[vgprValuB_X2_I0_D0+0], s[sgprPackKForV1] // select K=01 for vector=1
v_perm_b32 v[vgprPackTemp], v[vgprValuB_X2_I0_D3+0], v[vgprValuB_X2_I0_D2+0], s[sgprPackKForV1] // select K=23 for vector=1
_v_lshl_or_b32 v[vgprValuB_X2_I0+2], v[vgprPackTemp], 0x10, v[vgprValuB_X2_I0+2] // pack two half Vgpr to one Vgpr
v_perm_b32 v[vgprValuB_X2_I0+3], v[vgprValuB_X2_I0_D5+0], v[vgprValuB_X2_I0_D4+0], s[sgprPackKForV1] // select K=45 for vector=1
v_perm_b32 v[vgprPackTemp], v[vgprValuB_X2_I0_D7+0], v[vgprValuB_X2_I0_D6+0], s[sgprPackKForV1] // select K=67 for vector=1
_v_lshl_or_b32 v[vgprValuB_X2_I0+3], v[vgprPackTemp], 0x10, v[vgprValuB_X2_I0+3] // pack two half Vgpr to one Vgpr
v_mfma_f32_16x16x32_bf8_fp8 a[28+0:31+0], v[vgprValuB_X2_I0+0+0+0:vgprValuB_X2_I0+0+0+0+1], v[vgprValuA_X2_I0+14+0+0:vgprValuA_X2_I0+14+0+0+1], a[28:31]
/*  mfmaIndex:136  */
/* localReadsVacancy: latencyLeft 2 */
/* pack scheduling: packAIdx:48, packBIdx:12 */
v_perm_b32 v[vgprValuB_X2_I0+4], v[vgprValuB_X2_I0_D1+0], v[vgprValuB_X2_I0_D0+0], s[sgprPackKForV2] // select K=01 for vector=2
v_perm_b32 v[vgprPackTemp], v[vgprValuB_X2_I0_D3+0], v[vgprValuB_X2_I0_D2+0], s[sgprPackKForV2] // select K=23 for vector=2
_v_lshl_or_b32 v[vgprValuB_X2_I0+4], v[vgprPackTemp], 0x10, v[vgprValuB_X2_I0+4] // pack two half Vgpr to one Vgpr
v_perm_b32 v[vgprValuB_X2_I0+5], v[vgprValuB_X2_I0_D5+0], v[vgprValuB_X2_I0_D4+0], s[sgprPackKForV2] // select K=45 for vector=2
v_perm_b32 v[vgprPackTemp], v[vgprValuB_X2_I0_D7+0], v[vgprValuB_X2_I0_D6+0], s[sgprPackKForV2] // select K=67 for vector=2
_v_lshl_or_b32 v[vgprValuB_X2_I0+5], v[vgprPackTemp], 0x10, v[vgprValuB_X2_I0+5] // pack two half Vgpr to one Vgpr
v_mfma_f32_16x16x32_bf8_fp8 a[60+0:63+0], v[vgprValuB_X2_I0+2+0+0:vgprValuB_X2_I0+2+0+0+1], v[vgprValuA_X2_I0+14+0+0:vgprValuA_X2_I0+14+0+0+1], a[60:63]
/*  mfmaIndex:137  */
/* localReadsVacancy: latencyLeft 2 */
/* pack scheduling: packAIdx:48, packBIdx:12 */
v_perm_b32 v[vgprValuB_X2_I0+6], v[vgprValuB_X2_I0_D1+0], v[vgprValuB_X2_I0_D0+0], s[sgprPackKForV3] // select K=01 for vector=3
v_perm_b32 v[vgprPackTemp], v[vgprValuB_X2_I0_D3+0], v[vgprValuB_X2_I0_D2+0], s[sgprPackKForV3] // select K=23 for vector=3
_v_lshl_or_b32 v[vgprValuB_X2_I0+6], v[vgprPackTemp], 0x10, v[vgprValuB_X2_I0+6] // pack two half Vgpr to one Vgpr
v_perm_b32 v[vgprValuB_X2_I0+7], v[vgprValuB_X2_I0_D5+0], v[vgprValuB_X2_I0_D4+0], s[sgprPackKForV3] // select K=45 for vector=3
v_perm_b32 v[vgprPackTemp], v[vgprValuB_X2_I0_D7+0], v[vgprValuB_X2_I0_D6+0], s[sgprPackKForV3] // select K=67 for vector=3
_v_lshl_or_b32 v[vgprValuB_X2_I0+7], v[vgprPackTemp], 0x10, v[vgprValuB_X2_I0+7] // pack two half Vgpr to one Vgpr
v_mfma_f32_16x16x32_bf8_fp8 a[56+0:59+0], v[vgprValuB_X2_I0+2+0+0:vgprValuB_X2_I0+2+0+0+1], v[vgprValuA_X2_I0+12+0+0:vgprValuA_X2_I0+12+0+0+1], a[56:59]
/*  mfmaIndex:138  */
/* localReadsVacancy: latencyLeft 2 */
/* pack scheduling: packAIdx:48, packBIdx:12 */
v_perm_b32 v[vgprValuB_X2_I0+8], v[vgprValuB_X2_I0_D1+1], v[vgprValuB_X2_I0_D0+1], s[sgprPackKForV0] // select K=01 for vector=0
v_perm_b32 v[vgprPackTemp], v[vgprValuB_X2_I0_D3+1], v[vgprValuB_X2_I0_D2+1], s[sgprPackKForV0] // select K=23 for vector=0
_v_lshl_or_b32 v[vgprValuB_X2_I0+8], v[vgprPackTemp], 0x10, v[vgprValuB_X2_I0+8] // pack two half Vgpr to one Vgpr
v_perm_b32 v[vgprValuB_X2_I0+9], v[vgprValuB_X2_I0_D5+1], v[vgprValuB_X2_I0_D4+1], s[sgprPackKForV0] // select K=45 for vector=0
v_perm_b32 v[vgprPackTemp], v[vgprValuB_X2_I0_D7+1], v[vgprValuB_X2_I0_D6+1], s[sgprPackKForV0] // select K=67 for vector=0
_v_lshl_or_b32 v[vgprValuB_X2_I0+9], v[vgprPackTemp], 0x10, v[vgprValuB_X2_I0+9] // pack two half Vgpr to one Vgpr
v_mfma_f32_16x16x32_bf8_fp8 a[52+0:55+0], v[vgprValuB_X2_I0+2+0+0:vgprValuB_X2_I0+2+0+0+1], v[vgprValuA_X2_I0+10+0+0:vgprValuA_X2_I0+10+0+0+1], a[52:55]
/*  mfmaIndex:139  */
/* localReadsVacancy: latencyLeft 2 */
/* pack scheduling: packAIdx:48, packBIdx:12 */
v_perm_b32 v[vgprValuB_X2_I0+10], v[vgprValuB_X2_I0_D1+1], v[vgprValuB_X2_I0_D0+1], s[sgprPackKForV1] // select K=01 for vector=1
v_perm_b32 v[vgprPackTemp], v[vgprValuB_X2_I0_D3+1], v[vgprValuB_X2_I0_D2+1], s[sgprPackKForV1] // select K=23 for vector=1
_v_lshl_or_b32 v[vgprValuB_X2_I0+10], v[vgprPackTemp], 0x10, v[vgprValuB_X2_I0+10] // pack two half Vgpr to one Vgpr
v_perm_b32 v[vgprValuB_X2_I0+11], v[vgprValuB_X2_I0_D5+1], v[vgprValuB_X2_I0_D4+1], s[sgprPackKForV1] // select K=45 for vector=1
v_perm_b32 v[vgprPackTemp], v[vgprValuB_X2_I0_D7+1], v[vgprValuB_X2_I0_D6+1], s[sgprPackKForV1] // select K=67 for vector=1
_v_lshl_or_b32 v[vgprValuB_X2_I0+11], v[vgprPackTemp], 0x10, v[vgprValuB_X2_I0+11] // pack two half Vgpr to one Vgpr
v_mfma_f32_16x16x32_bf8_fp8 a[48+0:51+0], v[vgprValuB_X2_I0+2+0+0:vgprValuB_X2_I0+2+0+0+1], v[vgprValuA_X2_I0+8+0+0:vgprValuA_X2_I0+8+0+0+1], a[48:51]
/*  mfmaIndex:140  */
/* localReadsVacancy: latencyLeft 2 */
/* pack scheduling: packAIdx:48, packBIdx:12 */
v_perm_b32 v[vgprValuB_X2_I0+12], v[vgprValuB_X2_I0_D1+1], v[vgprValuB_X2_I0_D0+1], s[sgprPackKForV2] // select K=01 for vector=2
v_perm_b32 v[vgprPackTemp], v[vgprValuB_X2_I0_D3+1], v[vgprValuB_X2_I0_D2+1], s[sgprPackKForV2] // select K=23 for vector=2
_v_lshl_or_b32 v[vgprValuB_X2_I0+12], v[vgprPackTemp], 0x10, v[vgprValuB_X2_I0+12] // pack two half Vgpr to one Vgpr
v_perm_b32 v[vgprValuB_X2_I0+13], v[vgprValuB_X2_I0_D5+1], v[vgprValuB_X2_I0_D4+1], s[sgprPackKForV2] // select K=45 for vector=2
v_perm_b32 v[vgprPackTemp], v[vgprValuB_X2_I0_D7+1], v[vgprValuB_X2_I0_D6+1], s[sgprPackKForV2] // select K=67 for vector=2
_v_lshl_or_b32 v[vgprValuB_X2_I0+13], v[vgprPackTemp], 0x10, v[vgprValuB_X2_I0+13] // pack two half Vgpr to one Vgpr
v_mfma_f32_16x16x32_bf8_fp8 a[44+0:47+0], v[vgprValuB_X2_I0+2+0+0:vgprValuB_X2_I0+2+0+0+1], v[vgprValuA_X2_I0+6+0+0:vgprValuA_X2_I0+6+0+0+1], a[44:47]
/*  mfmaIndex:141  */
/* localReadsVacancy: latencyLeft 2 */
/* pack scheduling: packAIdx:48, packBIdx:12 */
v_perm_b32 v[vgprValuB_X2_I0+14], v[vgprValuB_X2_I0_D1+1], v[vgprValuB_X2_I0_D0+1], s[sgprPackKForV3] // select K=01 for vector=3
v_perm_b32 v[vgprPackTemp], v[vgprValuB_X2_I0_D3+1], v[vgprValuB_X2_I0_D2+1], s[sgprPackKForV3] // select K=23 for vector=3
_v_lshl_or_b32 v[vgprValuB_X2_I0+14], v[vgprPackTemp], 0x10, v[vgprValuB_X2_I0+14] // pack two half Vgpr to one Vgpr
v_perm_b32 v[vgprValuB_X2_I0+15], v[vgprValuB_X2_I0_D5+1], v[vgprValuB_X2_I0_D4+1], s[sgprPackKForV3] // select K=45 for vector=3
v_perm_b32 v[vgprPackTemp], v[vgprValuB_X2_I0_D7+1], v[vgprValuB_X2_I0_D6+1], s[sgprPackKForV3] // select K=67 for vector=3
_v_lshl_or_b32 v[vgprValuB_X2_I0+15], v[vgprPackTemp], 0x10, v[vgprValuB_X2_I0+15] // pack two half Vgpr to one Vgpr
v_mfma_f32_16x16x32_bf8_fp8 a[40+0:43+0], v[vgprValuB_X2_I0+2+0+0:vgprValuB_X2_I0+2+0+0+1], v[vgprValuA_X2_I0+4+0+0:vgprValuA_X2_I0+4+0+0+1], a[40:43]
/*  mfmaIndex:142  */
/* localReadsVacancy: latencyLeft 2 */
v_mfma_f32_16x16x32_bf8_fp8 a[36+0:39+0], v[vgprValuB_X2_I0+2+0+0:vgprValuB_X2_I0+2+0+0+1], v[vgprValuA_X2_I0+2+0+0:vgprValuA_X2_I0+2+0+0+1], a[36:39]
/*  mfmaIndex:143  */
/* localReadsVacancy: latencyLeft 2 */
	;; [unrolled: 3-line block ×50, first 2 shown]
v_mfma_f32_16x16x32_bf8_fp8 a[224+0:227+0], v[vgprValuB_X2_I0+14+0+0:vgprValuB_X2_I0+14+0+0+1], v[vgprValuA_X2_I0+0+0+0:vgprValuA_X2_I0+0+0+0+1], a[224:227]
/* numPrefetchIter=0 */
/* dataAtIterA=1 numReadsIterA=3 skipReadsIterA=1 readsPerIterA=8 */
/* dataAtIterB=1 numReadsIterB=3 skipReadsIterB=1 readsPerIterB=8 */


/* closeLoop loopL finalLoop=0 tailLoop=1 */
s_sub_i32 s[sgprLoopCounterL], s[sgprLoopCounterL], 0x20 // dec counterL (tailLoop)
s_add_u32 s[sgprOrigLoopCounter], s[sgprOrigLoopCounter], 0x20 // inc counterL
s_cmp_le_i32 s[sgprLoopCounterL], 0x0              // counterL<=0
s_cbranch_scc1 TailLoopEndL_7                      // exit LoopL


/* iter 3 (last unrolled loop) */

/*  grEndMfmaIndex:0, lwStartMfmaIndex:229, lwEndMfmaIndex:229  */
/*  numMfmaForLR:21, barrierMfmaIndex:234, LocalWritePerMfma:0.090 */
/*  mfmaIndex:192  */
s_waitcnt lgkmcnt(0)                               // lgkmcnt=0 vmcnt=-1wait for prior local read local write old=0, new=0 newLW=0 newLR=0
/* pack scheduling: packAIdx:6, packBIdx:6 */
v_perm_b32 v[vgprValuA_X3_I0+0], v[vgprValuA_X3_I0_D1+0], v[vgprValuA_X3_I0_D0+0], s[sgprPackKForV0] // select K=01 for vector=0
v_perm_b32 v[vgprPackTemp], v[vgprValuA_X3_I0_D3+0], v[vgprValuA_X3_I0_D2+0], s[sgprPackKForV0] // select K=23 for vector=0
_v_lshl_or_b32 v[vgprValuA_X3_I0+0], v[vgprPackTemp], 0x10, v[vgprValuA_X3_I0+0] // pack two half Vgpr to one Vgpr
v_perm_b32 v[vgprValuA_X3_I0+1], v[vgprValuA_X3_I0_D5+0], v[vgprValuA_X3_I0_D4+0], s[sgprPackKForV0] // select K=45 for vector=0
v_perm_b32 v[vgprPackTemp], v[vgprValuA_X3_I0_D7+0], v[vgprValuA_X3_I0_D6+0], s[sgprPackKForV0] // select K=67 for vector=0
_v_lshl_or_b32 v[vgprValuA_X3_I0+1], v[vgprPackTemp], 0x10, v[vgprValuA_X3_I0+1] // pack two half Vgpr to one Vgpr
v_perm_b32 v[vgprValuB_X3_I0+0], v[vgprValuB_X3_I0_D1+0], v[vgprValuB_X3_I0_D0+0], s[sgprPackKForV0] // select K=01 for vector=0
v_perm_b32 v[vgprPackTemp], v[vgprValuB_X3_I0_D3+0], v[vgprValuB_X3_I0_D2+0], s[sgprPackKForV0] // select K=23 for vector=0
_v_lshl_or_b32 v[vgprValuB_X3_I0+0], v[vgprPackTemp], 0x10, v[vgprValuB_X3_I0+0] // pack two half Vgpr to one Vgpr
v_perm_b32 v[vgprValuB_X3_I0+1], v[vgprValuB_X3_I0_D5+0], v[vgprValuB_X3_I0_D4+0], s[sgprPackKForV0] // select K=45 for vector=0
v_perm_b32 v[vgprPackTemp], v[vgprValuB_X3_I0_D7+0], v[vgprValuB_X3_I0_D6+0], s[sgprPackKForV0] // select K=67 for vector=0
_v_lshl_or_b32 v[vgprValuB_X3_I0+1], v[vgprPackTemp], 0x10, v[vgprValuB_X3_I0+1] // pack two half Vgpr to one Vgpr
v_perm_b32 v[vgprValuA_X3_I0+2], v[vgprValuA_X3_I0_D1+0], v[vgprValuA_X3_I0_D0+0], s[sgprPackKForV1] // select K=01 for vector=1
v_perm_b32 v[vgprPackTemp], v[vgprValuA_X3_I0_D3+0], v[vgprValuA_X3_I0_D2+0], s[sgprPackKForV1] // select K=23 for vector=1
_v_lshl_or_b32 v[vgprValuA_X3_I0+2], v[vgprPackTemp], 0x10, v[vgprValuA_X3_I0+2] // pack two half Vgpr to one Vgpr
v_perm_b32 v[vgprValuA_X3_I0+3], v[vgprValuA_X3_I0_D5+0], v[vgprValuA_X3_I0_D4+0], s[sgprPackKForV1] // select K=45 for vector=1
v_perm_b32 v[vgprPackTemp], v[vgprValuA_X3_I0_D7+0], v[vgprValuA_X3_I0_D6+0], s[sgprPackKForV1] // select K=67 for vector=1
_v_lshl_or_b32 v[vgprValuA_X3_I0+3], v[vgprPackTemp], 0x10, v[vgprValuA_X3_I0+3] // pack two half Vgpr to one Vgpr
s_nop 1
v_mfma_f32_16x16x32_bf8_fp8 a[0+0:3+0], v[vgprValuB_X3_I0+0+0+0:vgprValuB_X3_I0+0+0+0+1], v[vgprValuA_X3_I0+0+0+0:vgprValuA_X3_I0+0+0+0+1], a[0:3]
/*  mfmaIndex:193  */
/* pack scheduling: packAIdx:12, packBIdx:6 */
v_perm_b32 v[vgprValuA_X3_I0+4], v[vgprValuA_X3_I0_D1+0], v[vgprValuA_X3_I0_D0+0], s[sgprPackKForV2] // select K=01 for vector=2
v_perm_b32 v[vgprPackTemp], v[vgprValuA_X3_I0_D3+0], v[vgprValuA_X3_I0_D2+0], s[sgprPackKForV2] // select K=23 for vector=2
_v_lshl_or_b32 v[vgprValuA_X3_I0+4], v[vgprPackTemp], 0x10, v[vgprValuA_X3_I0+4] // pack two half Vgpr to one Vgpr
v_perm_b32 v[vgprValuA_X3_I0+5], v[vgprValuA_X3_I0_D5+0], v[vgprValuA_X3_I0_D4+0], s[sgprPackKForV2] // select K=45 for vector=2
v_perm_b32 v[vgprPackTemp], v[vgprValuA_X3_I0_D7+0], v[vgprValuA_X3_I0_D6+0], s[sgprPackKForV2] // select K=67 for vector=2
_v_lshl_or_b32 v[vgprValuA_X3_I0+5], v[vgprPackTemp], 0x10, v[vgprValuA_X3_I0+5] // pack two half Vgpr to one Vgpr
v_mfma_f32_16x16x32_bf8_fp8 a[4+0:7+0], v[vgprValuB_X3_I0+0+0+0:vgprValuB_X3_I0+0+0+0+1], v[vgprValuA_X3_I0+2+0+0:vgprValuA_X3_I0+2+0+0+1], a[4:7]
/*  mfmaIndex:194  */
/* pack scheduling: packAIdx:18, packBIdx:6 */
v_perm_b32 v[vgprValuA_X3_I0+6], v[vgprValuA_X3_I0_D1+0], v[vgprValuA_X3_I0_D0+0], s[sgprPackKForV3] // select K=01 for vector=3
v_perm_b32 v[vgprPackTemp], v[vgprValuA_X3_I0_D3+0], v[vgprValuA_X3_I0_D2+0], s[sgprPackKForV3] // select K=23 for vector=3
_v_lshl_or_b32 v[vgprValuA_X3_I0+6], v[vgprPackTemp], 0x10, v[vgprValuA_X3_I0+6] // pack two half Vgpr to one Vgpr
v_perm_b32 v[vgprValuA_X3_I0+7], v[vgprValuA_X3_I0_D5+0], v[vgprValuA_X3_I0_D4+0], s[sgprPackKForV3] // select K=45 for vector=3
v_perm_b32 v[vgprPackTemp], v[vgprValuA_X3_I0_D7+0], v[vgprValuA_X3_I0_D6+0], s[sgprPackKForV3] // select K=67 for vector=3
_v_lshl_or_b32 v[vgprValuA_X3_I0+7], v[vgprPackTemp], 0x10, v[vgprValuA_X3_I0+7] // pack two half Vgpr to one Vgpr
v_mfma_f32_16x16x32_bf8_fp8 a[8+0:11+0], v[vgprValuB_X3_I0+0+0+0:vgprValuB_X3_I0+0+0+0+1], v[vgprValuA_X3_I0+4+0+0:vgprValuA_X3_I0+4+0+0+1], a[8:11]
/*  mfmaIndex:195  */
/* pack scheduling: packAIdx:24, packBIdx:6 */
v_perm_b32 v[vgprValuA_X3_I0+8], v[vgprValuA_X3_I0_D1+1], v[vgprValuA_X3_I0_D0+1], s[sgprPackKForV0] // select K=01 for vector=0
v_perm_b32 v[vgprPackTemp], v[vgprValuA_X3_I0_D3+1], v[vgprValuA_X3_I0_D2+1], s[sgprPackKForV0] // select K=23 for vector=0
_v_lshl_or_b32 v[vgprValuA_X3_I0+8], v[vgprPackTemp], 0x10, v[vgprValuA_X3_I0+8] // pack two half Vgpr to one Vgpr
v_perm_b32 v[vgprValuA_X3_I0+9], v[vgprValuA_X3_I0_D5+1], v[vgprValuA_X3_I0_D4+1], s[sgprPackKForV0] // select K=45 for vector=0
v_perm_b32 v[vgprPackTemp], v[vgprValuA_X3_I0_D7+1], v[vgprValuA_X3_I0_D6+1], s[sgprPackKForV0] // select K=67 for vector=0
_v_lshl_or_b32 v[vgprValuA_X3_I0+9], v[vgprPackTemp], 0x10, v[vgprValuA_X3_I0+9] // pack two half Vgpr to one Vgpr
v_mfma_f32_16x16x32_bf8_fp8 a[12+0:15+0], v[vgprValuB_X3_I0+0+0+0:vgprValuB_X3_I0+0+0+0+1], v[vgprValuA_X3_I0+6+0+0:vgprValuA_X3_I0+6+0+0+1], a[12:15]
/*  mfmaIndex:196  */
/* pack scheduling: packAIdx:30, packBIdx:6 */
v_perm_b32 v[vgprValuA_X3_I0+10], v[vgprValuA_X3_I0_D1+1], v[vgprValuA_X3_I0_D0+1], s[sgprPackKForV1] // select K=01 for vector=1
v_perm_b32 v[vgprPackTemp], v[vgprValuA_X3_I0_D3+1], v[vgprValuA_X3_I0_D2+1], s[sgprPackKForV1] // select K=23 for vector=1
_v_lshl_or_b32 v[vgprValuA_X3_I0+10], v[vgprPackTemp], 0x10, v[vgprValuA_X3_I0+10] // pack two half Vgpr to one Vgpr
v_perm_b32 v[vgprValuA_X3_I0+11], v[vgprValuA_X3_I0_D5+1], v[vgprValuA_X3_I0_D4+1], s[sgprPackKForV1] // select K=45 for vector=1
v_perm_b32 v[vgprPackTemp], v[vgprValuA_X3_I0_D7+1], v[vgprValuA_X3_I0_D6+1], s[sgprPackKForV1] // select K=67 for vector=1
_v_lshl_or_b32 v[vgprValuA_X3_I0+11], v[vgprPackTemp], 0x10, v[vgprValuA_X3_I0+11] // pack two half Vgpr to one Vgpr
v_mfma_f32_16x16x32_bf8_fp8 a[16+0:19+0], v[vgprValuB_X3_I0+0+0+0:vgprValuB_X3_I0+0+0+0+1], v[vgprValuA_X3_I0+8+0+0:vgprValuA_X3_I0+8+0+0+1], a[16:19]
/*  mfmaIndex:197  */
/* pack scheduling: packAIdx:36, packBIdx:6 */
v_perm_b32 v[vgprValuA_X3_I0+12], v[vgprValuA_X3_I0_D1+1], v[vgprValuA_X3_I0_D0+1], s[sgprPackKForV2] // select K=01 for vector=2
v_perm_b32 v[vgprPackTemp], v[vgprValuA_X3_I0_D3+1], v[vgprValuA_X3_I0_D2+1], s[sgprPackKForV2] // select K=23 for vector=2
_v_lshl_or_b32 v[vgprValuA_X3_I0+12], v[vgprPackTemp], 0x10, v[vgprValuA_X3_I0+12] // pack two half Vgpr to one Vgpr
v_perm_b32 v[vgprValuA_X3_I0+13], v[vgprValuA_X3_I0_D5+1], v[vgprValuA_X3_I0_D4+1], s[sgprPackKForV2] // select K=45 for vector=2
v_perm_b32 v[vgprPackTemp], v[vgprValuA_X3_I0_D7+1], v[vgprValuA_X3_I0_D6+1], s[sgprPackKForV2] // select K=67 for vector=2
_v_lshl_or_b32 v[vgprValuA_X3_I0+13], v[vgprPackTemp], 0x10, v[vgprValuA_X3_I0+13] // pack two half Vgpr to one Vgpr
v_mfma_f32_16x16x32_bf8_fp8 a[20+0:23+0], v[vgprValuB_X3_I0+0+0+0:vgprValuB_X3_I0+0+0+0+1], v[vgprValuA_X3_I0+10+0+0:vgprValuA_X3_I0+10+0+0+1], a[20:23]
/*  mfmaIndex:198  */
/* pack scheduling: packAIdx:42, packBIdx:6 */
v_perm_b32 v[vgprValuA_X3_I0+14], v[vgprValuA_X3_I0_D1+1], v[vgprValuA_X3_I0_D0+1], s[sgprPackKForV3] // select K=01 for vector=3
v_perm_b32 v[vgprPackTemp], v[vgprValuA_X3_I0_D3+1], v[vgprValuA_X3_I0_D2+1], s[sgprPackKForV3] // select K=23 for vector=3
_v_lshl_or_b32 v[vgprValuA_X3_I0+14], v[vgprPackTemp], 0x10, v[vgprValuA_X3_I0+14] // pack two half Vgpr to one Vgpr
v_perm_b32 v[vgprValuA_X3_I0+15], v[vgprValuA_X3_I0_D5+1], v[vgprValuA_X3_I0_D4+1], s[sgprPackKForV3] // select K=45 for vector=3
v_perm_b32 v[vgprPackTemp], v[vgprValuA_X3_I0_D7+1], v[vgprValuA_X3_I0_D6+1], s[sgprPackKForV3] // select K=67 for vector=3
_v_lshl_or_b32 v[vgprValuA_X3_I0+15], v[vgprPackTemp], 0x10, v[vgprValuA_X3_I0+15] // pack two half Vgpr to one Vgpr
v_mfma_f32_16x16x32_bf8_fp8 a[24+0:27+0], v[vgprValuB_X3_I0+0+0+0:vgprValuB_X3_I0+0+0+0+1], v[vgprValuA_X3_I0+12+0+0:vgprValuA_X3_I0+12+0+0+1], a[24:27]
/*  mfmaIndex:199  */
/* pack scheduling: packAIdx:48, packBIdx:6 */
v_perm_b32 v[vgprValuB_X3_I0+2], v[vgprValuB_X3_I0_D1+0], v[vgprValuB_X3_I0_D0+0], s[sgprPackKForV1] // select K=01 for vector=1
v_perm_b32 v[vgprPackTemp], v[vgprValuB_X3_I0_D3+0], v[vgprValuB_X3_I0_D2+0], s[sgprPackKForV1] // select K=23 for vector=1
_v_lshl_or_b32 v[vgprValuB_X3_I0+2], v[vgprPackTemp], 0x10, v[vgprValuB_X3_I0+2] // pack two half Vgpr to one Vgpr
v_perm_b32 v[vgprValuB_X3_I0+3], v[vgprValuB_X3_I0_D5+0], v[vgprValuB_X3_I0_D4+0], s[sgprPackKForV1] // select K=45 for vector=1
v_perm_b32 v[vgprPackTemp], v[vgprValuB_X3_I0_D7+0], v[vgprValuB_X3_I0_D6+0], s[sgprPackKForV1] // select K=67 for vector=1
_v_lshl_or_b32 v[vgprValuB_X3_I0+3], v[vgprPackTemp], 0x10, v[vgprValuB_X3_I0+3] // pack two half Vgpr to one Vgpr
v_mfma_f32_16x16x32_bf8_fp8 a[28+0:31+0], v[vgprValuB_X3_I0+0+0+0:vgprValuB_X3_I0+0+0+0+1], v[vgprValuA_X3_I0+14+0+0:vgprValuA_X3_I0+14+0+0+1], a[28:31]
/*  mfmaIndex:200  */
/* pack scheduling: packAIdx:48, packBIdx:12 */
v_perm_b32 v[vgprValuB_X3_I0+4], v[vgprValuB_X3_I0_D1+0], v[vgprValuB_X3_I0_D0+0], s[sgprPackKForV2] // select K=01 for vector=2
v_perm_b32 v[vgprPackTemp], v[vgprValuB_X3_I0_D3+0], v[vgprValuB_X3_I0_D2+0], s[sgprPackKForV2] // select K=23 for vector=2
_v_lshl_or_b32 v[vgprValuB_X3_I0+4], v[vgprPackTemp], 0x10, v[vgprValuB_X3_I0+4] // pack two half Vgpr to one Vgpr
v_perm_b32 v[vgprValuB_X3_I0+5], v[vgprValuB_X3_I0_D5+0], v[vgprValuB_X3_I0_D4+0], s[sgprPackKForV2] // select K=45 for vector=2
v_perm_b32 v[vgprPackTemp], v[vgprValuB_X3_I0_D7+0], v[vgprValuB_X3_I0_D6+0], s[sgprPackKForV2] // select K=67 for vector=2
_v_lshl_or_b32 v[vgprValuB_X3_I0+5], v[vgprPackTemp], 0x10, v[vgprValuB_X3_I0+5] // pack two half Vgpr to one Vgpr
v_mfma_f32_16x16x32_bf8_fp8 a[60+0:63+0], v[vgprValuB_X3_I0+2+0+0:vgprValuB_X3_I0+2+0+0+1], v[vgprValuA_X3_I0+14+0+0:vgprValuA_X3_I0+14+0+0+1], a[60:63]
/*  mfmaIndex:201  */
/* pack scheduling: packAIdx:48, packBIdx:12 */
v_perm_b32 v[vgprValuB_X3_I0+6], v[vgprValuB_X3_I0_D1+0], v[vgprValuB_X3_I0_D0+0], s[sgprPackKForV3] // select K=01 for vector=3
v_perm_b32 v[vgprPackTemp], v[vgprValuB_X3_I0_D3+0], v[vgprValuB_X3_I0_D2+0], s[sgprPackKForV3] // select K=23 for vector=3
_v_lshl_or_b32 v[vgprValuB_X3_I0+6], v[vgprPackTemp], 0x10, v[vgprValuB_X3_I0+6] // pack two half Vgpr to one Vgpr
v_perm_b32 v[vgprValuB_X3_I0+7], v[vgprValuB_X3_I0_D5+0], v[vgprValuB_X3_I0_D4+0], s[sgprPackKForV3] // select K=45 for vector=3
v_perm_b32 v[vgprPackTemp], v[vgprValuB_X3_I0_D7+0], v[vgprValuB_X3_I0_D6+0], s[sgprPackKForV3] // select K=67 for vector=3
_v_lshl_or_b32 v[vgprValuB_X3_I0+7], v[vgprPackTemp], 0x10, v[vgprValuB_X3_I0+7] // pack two half Vgpr to one Vgpr
v_mfma_f32_16x16x32_bf8_fp8 a[56+0:59+0], v[vgprValuB_X3_I0+2+0+0:vgprValuB_X3_I0+2+0+0+1], v[vgprValuA_X3_I0+12+0+0:vgprValuA_X3_I0+12+0+0+1], a[56:59]
/*  mfmaIndex:202  */
/* pack scheduling: packAIdx:48, packBIdx:12 */
v_perm_b32 v[vgprValuB_X3_I0+8], v[vgprValuB_X3_I0_D1+1], v[vgprValuB_X3_I0_D0+1], s[sgprPackKForV0] // select K=01 for vector=0
v_perm_b32 v[vgprPackTemp], v[vgprValuB_X3_I0_D3+1], v[vgprValuB_X3_I0_D2+1], s[sgprPackKForV0] // select K=23 for vector=0
_v_lshl_or_b32 v[vgprValuB_X3_I0+8], v[vgprPackTemp], 0x10, v[vgprValuB_X3_I0+8] // pack two half Vgpr to one Vgpr
v_perm_b32 v[vgprValuB_X3_I0+9], v[vgprValuB_X3_I0_D5+1], v[vgprValuB_X3_I0_D4+1], s[sgprPackKForV0] // select K=45 for vector=0
v_perm_b32 v[vgprPackTemp], v[vgprValuB_X3_I0_D7+1], v[vgprValuB_X3_I0_D6+1], s[sgprPackKForV0] // select K=67 for vector=0
_v_lshl_or_b32 v[vgprValuB_X3_I0+9], v[vgprPackTemp], 0x10, v[vgprValuB_X3_I0+9] // pack two half Vgpr to one Vgpr
v_mfma_f32_16x16x32_bf8_fp8 a[52+0:55+0], v[vgprValuB_X3_I0+2+0+0:vgprValuB_X3_I0+2+0+0+1], v[vgprValuA_X3_I0+10+0+0:vgprValuA_X3_I0+10+0+0+1], a[52:55]
/*  mfmaIndex:203  */
/* pack scheduling: packAIdx:48, packBIdx:12 */
v_perm_b32 v[vgprValuB_X3_I0+10], v[vgprValuB_X3_I0_D1+1], v[vgprValuB_X3_I0_D0+1], s[sgprPackKForV1] // select K=01 for vector=1
v_perm_b32 v[vgprPackTemp], v[vgprValuB_X3_I0_D3+1], v[vgprValuB_X3_I0_D2+1], s[sgprPackKForV1] // select K=23 for vector=1
_v_lshl_or_b32 v[vgprValuB_X3_I0+10], v[vgprPackTemp], 0x10, v[vgprValuB_X3_I0+10] // pack two half Vgpr to one Vgpr
v_perm_b32 v[vgprValuB_X3_I0+11], v[vgprValuB_X3_I0_D5+1], v[vgprValuB_X3_I0_D4+1], s[sgprPackKForV1] // select K=45 for vector=1
v_perm_b32 v[vgprPackTemp], v[vgprValuB_X3_I0_D7+1], v[vgprValuB_X3_I0_D6+1], s[sgprPackKForV1] // select K=67 for vector=1
_v_lshl_or_b32 v[vgprValuB_X3_I0+11], v[vgprPackTemp], 0x10, v[vgprValuB_X3_I0+11] // pack two half Vgpr to one Vgpr
v_mfma_f32_16x16x32_bf8_fp8 a[48+0:51+0], v[vgprValuB_X3_I0+2+0+0:vgprValuB_X3_I0+2+0+0+1], v[vgprValuA_X3_I0+8+0+0:vgprValuA_X3_I0+8+0+0+1], a[48:51]
/*  mfmaIndex:204  */
/* pack scheduling: packAIdx:48, packBIdx:12 */
v_perm_b32 v[vgprValuB_X3_I0+12], v[vgprValuB_X3_I0_D1+1], v[vgprValuB_X3_I0_D0+1], s[sgprPackKForV2] // select K=01 for vector=2
v_perm_b32 v[vgprPackTemp], v[vgprValuB_X3_I0_D3+1], v[vgprValuB_X3_I0_D2+1], s[sgprPackKForV2] // select K=23 for vector=2
_v_lshl_or_b32 v[vgprValuB_X3_I0+12], v[vgprPackTemp], 0x10, v[vgprValuB_X3_I0+12] // pack two half Vgpr to one Vgpr
v_perm_b32 v[vgprValuB_X3_I0+13], v[vgprValuB_X3_I0_D5+1], v[vgprValuB_X3_I0_D4+1], s[sgprPackKForV2] // select K=45 for vector=2
v_perm_b32 v[vgprPackTemp], v[vgprValuB_X3_I0_D7+1], v[vgprValuB_X3_I0_D6+1], s[sgprPackKForV2] // select K=67 for vector=2
_v_lshl_or_b32 v[vgprValuB_X3_I0+13], v[vgprPackTemp], 0x10, v[vgprValuB_X3_I0+13] // pack two half Vgpr to one Vgpr
v_mfma_f32_16x16x32_bf8_fp8 a[44+0:47+0], v[vgprValuB_X3_I0+2+0+0:vgprValuB_X3_I0+2+0+0+1], v[vgprValuA_X3_I0+6+0+0:vgprValuA_X3_I0+6+0+0+1], a[44:47]
/*  mfmaIndex:205  */
/* pack scheduling: packAIdx:48, packBIdx:12 */
v_perm_b32 v[vgprValuB_X3_I0+14], v[vgprValuB_X3_I0_D1+1], v[vgprValuB_X3_I0_D0+1], s[sgprPackKForV3] // select K=01 for vector=3
v_perm_b32 v[vgprPackTemp], v[vgprValuB_X3_I0_D3+1], v[vgprValuB_X3_I0_D2+1], s[sgprPackKForV3] // select K=23 for vector=3
_v_lshl_or_b32 v[vgprValuB_X3_I0+14], v[vgprPackTemp], 0x10, v[vgprValuB_X3_I0+14] // pack two half Vgpr to one Vgpr
v_perm_b32 v[vgprValuB_X3_I0+15], v[vgprValuB_X3_I0_D5+1], v[vgprValuB_X3_I0_D4+1], s[sgprPackKForV3] // select K=45 for vector=3
v_perm_b32 v[vgprPackTemp], v[vgprValuB_X3_I0_D7+1], v[vgprValuB_X3_I0_D6+1], s[sgprPackKForV3] // select K=67 for vector=3
_v_lshl_or_b32 v[vgprValuB_X3_I0+15], v[vgprPackTemp], 0x10, v[vgprValuB_X3_I0+15] // pack two half Vgpr to one Vgpr
v_mfma_f32_16x16x32_bf8_fp8 a[40+0:43+0], v[vgprValuB_X3_I0+2+0+0:vgprValuB_X3_I0+2+0+0+1], v[vgprValuA_X3_I0+4+0+0:vgprValuA_X3_I0+4+0+0+1], a[40:43]
/*  mfmaIndex:206  */
v_mfma_f32_16x16x32_bf8_fp8 a[36+0:39+0], v[vgprValuB_X3_I0+2+0+0:vgprValuB_X3_I0+2+0+0+1], v[vgprValuA_X3_I0+2+0+0:vgprValuA_X3_I0+2+0+0+1], a[36:39]
/*  mfmaIndex:207  */
	;; [unrolled: 2-line block ×23, first 2 shown]
/* 1 LDS buffer: read-sync-write */
s_waitcnt lgkmcnt(0)                               // 
s_barrier                                          // 
v_mfma_f32_16x16x32_bf8_fp8 a[144+0:147+0], v[vgprValuB_X3_I0+8+0+0:vgprValuB_X3_I0+8+0+0+1], v[vgprValuA_X3_I0+8+0+0:vgprValuA_X3_I0+8+0+0+1], a[144:147]
/*  mfmaIndex:229  */
s_setprio 3                                        // store optimization
v_mfma_f32_16x16x32_bf8_fp8 a[148+0:151+0], v[vgprValuB_X3_I0+8+0+0:vgprValuB_X3_I0+8+0+0+1], v[vgprValuA_X3_I0+10+0+0:vgprValuA_X3_I0+10+0+0+1], a[148:151]
/*  mfmaIndex:230  */
v_mfma_f32_16x16x32_bf8_fp8 a[152+0:155+0], v[vgprValuB_X3_I0+8+0+0:vgprValuB_X3_I0+8+0+0+1], v[vgprValuA_X3_I0+12+0+0:vgprValuA_X3_I0+12+0+0+1], a[152:155]
/*  mfmaIndex:231  */
	;; [unrolled: 2-line block ×4, first 2 shown]
v_mfma_f32_16x16x32_bf8_fp8 a[184+0:187+0], v[vgprValuB_X3_I0+10+0+0:vgprValuB_X3_I0+10+0+0+1], v[vgprValuA_X3_I0+12+0+0:vgprValuA_X3_I0+12+0+0+1], a[184:187]
s_setprio 0                                        // store optimization
/*  mfmaIndex:234  */
v_mfma_f32_16x16x32_bf8_fp8 a[180+0:183+0], v[vgprValuB_X3_I0+10+0+0:vgprValuB_X3_I0+10+0+0+1], v[vgprValuA_X3_I0+10+0+0:vgprValuA_X3_I0+10+0+0+1], a[180:183]
/*  mfmaIndex:235  */
s_setprio 3                                        // store optimization
v_mfma_f32_16x16x32_bf8_fp8 a[176+0:179+0], v[vgprValuB_X3_I0+10+0+0:vgprValuB_X3_I0+10+0+0+1], v[vgprValuA_X3_I0+8+0+0:vgprValuA_X3_I0+8+0+0+1], a[176:179]
/*  mfmaIndex:236  */
v_mfma_f32_16x16x32_bf8_fp8 a[172+0:175+0], v[vgprValuB_X3_I0+10+0+0:vgprValuB_X3_I0+10+0+0+1], v[vgprValuA_X3_I0+6+0+0:vgprValuA_X3_I0+6+0+0+1], a[172:175]
/*  mfmaIndex:237  */
v_mfma_f32_16x16x32_bf8_fp8 a[168+0:171+0], v[vgprValuB_X3_I0+10+0+0:vgprValuB_X3_I0+10+0+0+1], v[vgprValuA_X3_I0+4+0+0:vgprValuA_X3_I0+4+0+0+1], a[168:171]
/*  mfmaIndex:238  */
v_mfma_f32_16x16x32_bf8_fp8 a[164+0:167+0], v[vgprValuB_X3_I0+10+0+0:vgprValuB_X3_I0+10+0+0+1], v[vgprValuA_X3_I0+2+0+0:vgprValuA_X3_I0+2+0+0+1], a[164:167]
/*  mfmaIndex:239  */
v_mfma_f32_16x16x32_bf8_fp8 a[160+0:163+0], v[vgprValuB_X3_I0+10+0+0:vgprValuB_X3_I0+10+0+0+1], v[vgprValuA_X3_I0+0+0+0:vgprValuA_X3_I0+0+0+0+1], a[160:163]
/*  mfmaIndex:240  */
v_mfma_f32_16x16x32_bf8_fp8 a[192+0:195+0], v[vgprValuB_X3_I0+12+0+0:vgprValuB_X3_I0+12+0+0+1], v[vgprValuA_X3_I0+0+0+0:vgprValuA_X3_I0+0+0+0+1], a[192:195]
/*  mfmaIndex:241  */
v_mfma_f32_16x16x32_bf8_fp8 a[196+0:199+0], v[vgprValuB_X3_I0+12+0+0:vgprValuB_X3_I0+12+0+0+1], v[vgprValuA_X3_I0+2+0+0:vgprValuA_X3_I0+2+0+0+1], a[196:199]
/*  mfmaIndex:242  */
v_mfma_f32_16x16x32_bf8_fp8 a[200+0:203+0], v[vgprValuB_X3_I0+12+0+0:vgprValuB_X3_I0+12+0+0+1], v[vgprValuA_X3_I0+4+0+0:vgprValuA_X3_I0+4+0+0+1], a[200:203]
/*  mfmaIndex:243  */
v_mfma_f32_16x16x32_bf8_fp8 a[204+0:207+0], v[vgprValuB_X3_I0+12+0+0:vgprValuB_X3_I0+12+0+0+1], v[vgprValuA_X3_I0+6+0+0:vgprValuA_X3_I0+6+0+0+1], a[204:207]
/*  mfmaIndex:244  */
v_mfma_f32_16x16x32_bf8_fp8 a[208+0:211+0], v[vgprValuB_X3_I0+12+0+0:vgprValuB_X3_I0+12+0+0+1], v[vgprValuA_X3_I0+8+0+0:vgprValuA_X3_I0+8+0+0+1], a[208:211]
/*  mfmaIndex:245  */
v_mfma_f32_16x16x32_bf8_fp8 a[212+0:215+0], v[vgprValuB_X3_I0+12+0+0:vgprValuB_X3_I0+12+0+0+1], v[vgprValuA_X3_I0+10+0+0:vgprValuA_X3_I0+10+0+0+1], a[212:215]
/*  mfmaIndex:246  */
v_mfma_f32_16x16x32_bf8_fp8 a[216+0:219+0], v[vgprValuB_X3_I0+12+0+0:vgprValuB_X3_I0+12+0+0+1], v[vgprValuA_X3_I0+12+0+0:vgprValuA_X3_I0+12+0+0+1], a[216:219]
/*  mfmaIndex:247  */
v_mfma_f32_16x16x32_bf8_fp8 a[220+0:223+0], v[vgprValuB_X3_I0+12+0+0:vgprValuB_X3_I0+12+0+0+1], v[vgprValuA_X3_I0+14+0+0:vgprValuA_X3_I0+14+0+0+1], a[220:223]
/*  mfmaIndex:248  */
v_mfma_f32_16x16x32_bf8_fp8 a[252+0:255+0], v[vgprValuB_X3_I0+14+0+0:vgprValuB_X3_I0+14+0+0+1], v[vgprValuA_X3_I0+14+0+0:vgprValuA_X3_I0+14+0+0+1], a[252:255]
/*  mfmaIndex:249  */
v_mfma_f32_16x16x32_bf8_fp8 a[248+0:251+0], v[vgprValuB_X3_I0+14+0+0:vgprValuB_X3_I0+14+0+0+1], v[vgprValuA_X3_I0+12+0+0:vgprValuA_X3_I0+12+0+0+1], a[248:251]
/*  mfmaIndex:250  */
v_mfma_f32_16x16x32_bf8_fp8 a[244+0:247+0], v[vgprValuB_X3_I0+14+0+0:vgprValuB_X3_I0+14+0+0+1], v[vgprValuA_X3_I0+10+0+0:vgprValuA_X3_I0+10+0+0+1], a[244:247]
/*  mfmaIndex:251  */
v_mfma_f32_16x16x32_bf8_fp8 a[240+0:243+0], v[vgprValuB_X3_I0+14+0+0:vgprValuB_X3_I0+14+0+0+1], v[vgprValuA_X3_I0+8+0+0:vgprValuA_X3_I0+8+0+0+1], a[240:243]
/*  mfmaIndex:252  */
v_mfma_f32_16x16x32_bf8_fp8 a[236+0:239+0], v[vgprValuB_X3_I0+14+0+0:vgprValuB_X3_I0+14+0+0+1], v[vgprValuA_X3_I0+6+0+0:vgprValuA_X3_I0+6+0+0+1], a[236:239]
/*  mfmaIndex:253  */
v_mfma_f32_16x16x32_bf8_fp8 a[232+0:235+0], v[vgprValuB_X3_I0+14+0+0:vgprValuB_X3_I0+14+0+0+1], v[vgprValuA_X3_I0+4+0+0:vgprValuA_X3_I0+4+0+0+1], a[232:235]
/*  mfmaIndex:254  */
v_mfma_f32_16x16x32_bf8_fp8 a[228+0:231+0], v[vgprValuB_X3_I0+14+0+0:vgprValuB_X3_I0+14+0+0+1], v[vgprValuA_X3_I0+2+0+0:vgprValuA_X3_I0+2+0+0+1], a[228:231]
/*  mfmaIndex:255  */
v_mfma_f32_16x16x32_bf8_fp8 a[224+0:227+0], v[vgprValuB_X3_I0+14+0+0:vgprValuB_X3_I0+14+0+0+1], v[vgprValuA_X3_I0+0+0+0:vgprValuA_X3_I0+0+0+0+1], a[224:227]
/* numPrefetchIter=0 */
/* dataAtIterA=2 numReadsIterA=3 skipReadsIterA=0 readsPerIterA=8 */
/* dataAtIterB=2 numReadsIterB=3 skipReadsIterB=0 readsPerIterB=8 */

TailLoopEndL_7:

s_waitcnt lgkmcnt(0)                               // lgkmcnt=0 vmcnt=-113wait for remaining local read for tail loop in NLL

PrefetchGlobalLastIterEnd_5:

Summation_End_34:
s_setprio 0                                        // optimization store
/* endSummation: add vgpr [0...228) to pool */
.set NumFullBlocks, UNDEF
.set WgmRemainder1, UNDEF
.set MagicNumberWgmRemainder1, UNDEF
.set ScalarGlobalReadOffsetA, UNDEF
.set ScalarGlobalReadOffsetB, UNDEF

/* Mapping of Acc register -> C Vgpr register */


	;; [unrolled: 1-line block ×3, first 2 shown]
/* not-LocalSplitU: global write indices */

/* computeStoreVgprs */
v_lshrrev_b32 v4, 6, v[vgprSerial]                 // v4 = v[vgprSerial] / 64
v_and_b32 v1, 63, v[vgprSerial]                    // v1 = v[vgprSerial] % 64
v_lshrrev_b32 v1, 4, v1                            // v1 = v1 / 16
v_lshlrev_b32 v1, 0x2, v1                          // thread0 * continuous_output
v_lshrrev_b32 v5, 1, v4                            // v5 = v4 / 2
v_mul_lo_u32 v5, 0x10, v5                          // wave coordination offset 1
_v_add_lshl_u32 v1, v5, v1, 3                      // coordination 1 = vwb *(wave_id1 + tid1)
v_mul_lo_u32 v2, v1, s[sgprStrideC1J]              //  offset 1
v_mul_lo_u32 v3, v1, s[sgprStrideD1J]              //  offset 1
v_and_b32 v5, 1, v4                                // v5 = v4 % 2
v_mul_lo_u32 v5, 0x10, v5                          // wave coordination offset 0
v_and_b32 v0, 15, v[vgprSerial]                    // v0 = v[vgprSerial] % 16
_v_add_lshl_u32 v0, v5, v0, 3                      // coordination 0 = vwa *(wave_id0 + tid0)
s_mul_i32 s35, 256, s[sgprWorkGroup0]              // wgp0 * MT0
_v_add_u32 v0, s35, v0                             // coord 0 = (tid0/MI_m)*4 + waveG0*MIB_m + MT0*SG0
s_mul_i32 s35, 256, s[sgprWorkGroup1]              // wgp1 * MT1
_v_add_u32 v1, s35, v1                             // coord 1 = (tid0%MI_m) + waveG1*MIB_n + MT1*SG1


/* not-LocalSplitU: global write */

s_cmpk_eq_u32 s[sgprBeta], 0x0                     // Beta == 0
s_cbranch_scc0 GW_Beta_49                          // Branch if Beta is not zero

s_and_b32 s52, 255, s[sgprSizeI]                   // s52 = s[sgprSizeI] % 256
s_add_u32 s53, -0x1, s[sgprNumWorkGroups0]         // 
s_cmp_ge_u32 s[sgprWorkGroup0], s53                // wg0 >= nwg0-1 ?
s_cselect_b32 s52, s52, 0                          // set rMT0
s_cmpk_gt_u32 s52, 0x0                             // rMT0 > 0
s_cbranch_scc1 GW_B0_E1_40                         // jump if edges required
s_and_b32 s52, 255, s[sgprSizeJ]                   // s52 = s[sgprSizeJ] % 256
s_add_u32 s53, -0x1, s[sgprNumWorkGroups1]         // 
s_cmp_ge_u32 s[sgprWorkGroup1], s53                // wg1 >= nwg1-1
s_cselect_b32 s52, s52, 0                          // set rMT1
s_cmpk_gt_u32 s52, 0x0                             // rMT1 > 0
s_cbranch_scc1 GW_B0_E1_40                         // jump if edges required
GW_B0_E0_37:

/* edge=0, allocate 2 sgpr. perBatchTmpS=2 perBatchMaskS=0 perElementMaskS=0 elementsPerBatch=29 */
/* optSingleColVgpr=1 optSharedColVgpr=0 optSGPRUsage=BufferLoad_Mask optSrdIncForRow=1 */

/******************************************/
/* Global Write Alpha Batch #0 (d1,d0,vc1,vc0) = */
/*    (0,0,0,0:vw8); (0,0,1,0:vw8); (0,0,2,0:vw8); (0,0,3,0:vw8); (0,0,4,0:vw8); (0,0,5,0:vw8); (0,0,6,0:vw8); (0,0,7,0:vw8); (0,0,8,0:vw8); (0,0,9,0:vw8); (0,0,10,0:vw8); (0,0,11,0:vw8); (0,0,12,0:vw8); (0,0,13,0:vw8); (0,0,14,0:vw8); (0,0,15,0:vw8); (0,0,16,0:vw8); (0,0,17,0:vw8); (0,0,18,0:vw8); (0,0,19,0:vw8); (0,0,20,0:vw8); (0,0,21,0:vw8); (0,0,22,0:vw8); (0,0,23,0:vw8); (0,0,24,0:vw8); (0,0,25,0:vw8); (0,0,26,0:vw8); (0,0,27,0:vw8); (0,0,28,0:vw8) */
/******************************************/

/* calc coords, apply mask, and issue loads (if necessary) */
/* (d1,vc1,d0,vc0)=(0,0,0,0) */
/* (d1,vc1,d0,vc0)=(0,1,0,0) */
	;; [unrolled: 1-line block ×29, first 2 shown]
_v_add_lshl_u32 v11, v3, v0, 0x0                   // optSingleColVgpr scaleToBpe: sharedAddrVgpr <- cinRowPtr + coord0, scaled by BPE. BSHERE:coord0=0, coord0Vgpr=0
v_accvgpr_read_b32 v[vgprValuC+16], acc0 // copy acc to vreg[0]
v_accvgpr_read_b32 v[vgprValuC+17], acc4 // copy acc to vreg[1]
v_accvgpr_read_b32 v[vgprValuC+18], acc8 // copy acc to vreg[2]
v_accvgpr_read_b32 v[vgprValuC+19], acc12 // copy acc to vreg[3]
v_accvgpr_read_b32 v[vgprValuC+20], acc16 // copy acc to vreg[4]
v_accvgpr_read_b32 v[vgprValuC+21], acc20 // copy acc to vreg[5]
v_accvgpr_read_b32 v[vgprValuC+22], acc24 // copy acc to vreg[6]
v_accvgpr_read_b32 v[vgprValuC+23], acc28 // copy acc to vreg[7]
v_accvgpr_read_b32 v[vgprValuC+24], acc32 // copy acc to vreg[8]
v_accvgpr_read_b32 v[vgprValuC+25], acc36 // copy acc to vreg[9]
v_accvgpr_read_b32 v[vgprValuC+26], acc40 // copy acc to vreg[10]
v_accvgpr_read_b32 v[vgprValuC+27], acc44 // copy acc to vreg[11]
v_accvgpr_read_b32 v[vgprValuC+28], acc48 // copy acc to vreg[12]
v_accvgpr_read_b32 v[vgprValuC+29], acc52 // copy acc to vreg[13]
v_accvgpr_read_b32 v[vgprValuC+30], acc56 // copy acc to vreg[14]
v_accvgpr_read_b32 v[vgprValuC+31], acc60 // copy acc to vreg[15]
v_accvgpr_read_b32 v[vgprValuC+32], acc64 // copy acc to vreg[16]
v_accvgpr_read_b32 v[vgprValuC+33], acc68 // copy acc to vreg[17]
v_accvgpr_read_b32 v[vgprValuC+34], acc72 // copy acc to vreg[18]
v_accvgpr_read_b32 v[vgprValuC+35], acc76 // copy acc to vreg[19]
v_accvgpr_read_b32 v[vgprValuC+36], acc80 // copy acc to vreg[20]
v_accvgpr_read_b32 v[vgprValuC+37], acc84 // copy acc to vreg[21]
v_accvgpr_read_b32 v[vgprValuC+38], acc88 // copy acc to vreg[22]
v_accvgpr_read_b32 v[vgprValuC+39], acc92 // copy acc to vreg[23]
v_accvgpr_read_b32 v[vgprValuC+40], acc96 // copy acc to vreg[24]
v_accvgpr_read_b32 v[vgprValuC+41], acc100 // copy acc to vreg[25]
v_accvgpr_read_b32 v[vgprValuC+42], acc104 // copy acc to vreg[26]
v_accvgpr_read_b32 v[vgprValuC+43], acc108 // copy acc to vreg[27]
v_accvgpr_read_b32 v[vgprValuC+44], acc112 // copy acc to vreg[28]
v_accvgpr_read_b32 v[vgprValuC+45], acc116 // copy acc to vreg[29]
v_accvgpr_read_b32 v[vgprValuC+46], acc120 // copy acc to vreg[30]
v_accvgpr_read_b32 v[vgprValuC+47], acc124 // copy acc to vreg[31]
v_accvgpr_read_b32 v[vgprValuC+48], acc128 // copy acc to vreg[32]
v_accvgpr_read_b32 v[vgprValuC+49], acc132 // copy acc to vreg[33]
v_accvgpr_read_b32 v[vgprValuC+50], acc136 // copy acc to vreg[34]
v_accvgpr_read_b32 v[vgprValuC+51], acc140 // copy acc to vreg[35]
v_accvgpr_read_b32 v[vgprValuC+52], acc144 // copy acc to vreg[36]
v_accvgpr_read_b32 v[vgprValuC+53], acc148 // copy acc to vreg[37]
v_accvgpr_read_b32 v[vgprValuC+54], acc152 // copy acc to vreg[38]
v_accvgpr_read_b32 v[vgprValuC+55], acc156 // copy acc to vreg[39]
v_accvgpr_read_b32 v[vgprValuC+56], acc160 // copy acc to vreg[40]
v_accvgpr_read_b32 v[vgprValuC+57], acc164 // copy acc to vreg[41]
v_accvgpr_read_b32 v[vgprValuC+58], acc168 // copy acc to vreg[42]
v_accvgpr_read_b32 v[vgprValuC+59], acc172 // copy acc to vreg[43]
v_accvgpr_read_b32 v[vgprValuC+60], acc176 // copy acc to vreg[44]
v_accvgpr_read_b32 v[vgprValuC+61], acc180 // copy acc to vreg[45]
v_accvgpr_read_b32 v[vgprValuC+62], acc184 // copy acc to vreg[46]
v_accvgpr_read_b32 v[vgprValuC+63], acc188 // copy acc to vreg[47]
v_accvgpr_read_b32 v[vgprValuC+64], acc192 // copy acc to vreg[48]
v_accvgpr_read_b32 v[vgprValuC+65], acc196 // copy acc to vreg[49]
v_accvgpr_read_b32 v[vgprValuC+66], acc200 // copy acc to vreg[50]
v_accvgpr_read_b32 v[vgprValuC+67], acc204 // copy acc to vreg[51]
v_accvgpr_read_b32 v[vgprValuC+68], acc208 // copy acc to vreg[52]
v_accvgpr_read_b32 v[vgprValuC+69], acc212 // copy acc to vreg[53]
v_accvgpr_read_b32 v[vgprValuC+70], acc216 // copy acc to vreg[54]
v_accvgpr_read_b32 v[vgprValuC+71], acc220 // copy acc to vreg[55]
v_accvgpr_read_b32 v[vgprValuC+72], acc224 // copy acc to vreg[56]
v_accvgpr_read_b32 v[vgprValuC+73], acc228 // copy acc to vreg[57]
v_accvgpr_read_b32 v[vgprValuC+74], acc232 // copy acc to vreg[58]
v_accvgpr_read_b32 v[vgprValuC+75], acc236 // copy acc to vreg[59]
v_accvgpr_read_b32 v[vgprValuC+76], acc240 // copy acc to vreg[60]
v_accvgpr_read_b32 v[vgprValuC+77], acc244 // copy acc to vreg[61]
v_accvgpr_read_b32 v[vgprValuC+78], acc248 // copy acc to vreg[62]
v_accvgpr_read_b32 v[vgprValuC+79], acc252 // copy acc to vreg[63]
v_accvgpr_read_b32 v[vgprValuC+80], acc1 // copy acc to vreg[64]
v_accvgpr_read_b32 v[vgprValuC+81], acc5 // copy acc to vreg[65]
v_accvgpr_read_b32 v[vgprValuC+82], acc9 // copy acc to vreg[66]
v_accvgpr_read_b32 v[vgprValuC+83], acc13 // copy acc to vreg[67]
v_accvgpr_read_b32 v[vgprValuC+84], acc17 // copy acc to vreg[68]
v_accvgpr_read_b32 v[vgprValuC+85], acc21 // copy acc to vreg[69]
v_accvgpr_read_b32 v[vgprValuC+86], acc25 // copy acc to vreg[70]
v_accvgpr_read_b32 v[vgprValuC+87], acc29 // copy acc to vreg[71]
v_accvgpr_read_b32 v[vgprValuC+88], acc33 // copy acc to vreg[72]
v_accvgpr_read_b32 v[vgprValuC+89], acc37 // copy acc to vreg[73]
v_accvgpr_read_b32 v[vgprValuC+90], acc41 // copy acc to vreg[74]
v_accvgpr_read_b32 v[vgprValuC+91], acc45 // copy acc to vreg[75]
v_accvgpr_read_b32 v[vgprValuC+92], acc49 // copy acc to vreg[76]
v_accvgpr_read_b32 v[vgprValuC+93], acc53 // copy acc to vreg[77]
v_accvgpr_read_b32 v[vgprValuC+94], acc57 // copy acc to vreg[78]
v_accvgpr_read_b32 v[vgprValuC+95], acc61 // copy acc to vreg[79]
v_accvgpr_read_b32 v[vgprValuC+96], acc65 // copy acc to vreg[80]
v_accvgpr_read_b32 v[vgprValuC+97], acc69 // copy acc to vreg[81]
v_accvgpr_read_b32 v[vgprValuC+98], acc73 // copy acc to vreg[82]
v_accvgpr_read_b32 v[vgprValuC+99], acc77 // copy acc to vreg[83]
v_accvgpr_read_b32 v[vgprValuC+100], acc81 // copy acc to vreg[84]
v_accvgpr_read_b32 v[vgprValuC+101], acc85 // copy acc to vreg[85]
v_accvgpr_read_b32 v[vgprValuC+102], acc89 // copy acc to vreg[86]
v_accvgpr_read_b32 v[vgprValuC+103], acc93 // copy acc to vreg[87]
v_accvgpr_read_b32 v[vgprValuC+104], acc97 // copy acc to vreg[88]
v_accvgpr_read_b32 v[vgprValuC+105], acc101 // copy acc to vreg[89]
v_accvgpr_read_b32 v[vgprValuC+106], acc105 // copy acc to vreg[90]
v_accvgpr_read_b32 v[vgprValuC+107], acc109 // copy acc to vreg[91]
v_accvgpr_read_b32 v[vgprValuC+108], acc113 // copy acc to vreg[92]
v_accvgpr_read_b32 v[vgprValuC+109], acc117 // copy acc to vreg[93]
v_accvgpr_read_b32 v[vgprValuC+110], acc121 // copy acc to vreg[94]
v_accvgpr_read_b32 v[vgprValuC+111], acc125 // copy acc to vreg[95]
v_accvgpr_read_b32 v[vgprValuC+112], acc129 // copy acc to vreg[96]
v_accvgpr_read_b32 v[vgprValuC+113], acc133 // copy acc to vreg[97]
v_accvgpr_read_b32 v[vgprValuC+114], acc137 // copy acc to vreg[98]
v_accvgpr_read_b32 v[vgprValuC+115], acc141 // copy acc to vreg[99]
v_accvgpr_read_b32 v[vgprValuC+116], acc145 // copy acc to vreg[100]
v_accvgpr_read_b32 v[vgprValuC+117], acc149 // copy acc to vreg[101]
v_accvgpr_read_b32 v[vgprValuC+118], acc153 // copy acc to vreg[102]
v_accvgpr_read_b32 v[vgprValuC+119], acc157 // copy acc to vreg[103]
v_accvgpr_read_b32 v[vgprValuC+120], acc161 // copy acc to vreg[104]
v_accvgpr_read_b32 v[vgprValuC+121], acc165 // copy acc to vreg[105]
v_accvgpr_read_b32 v[vgprValuC+122], acc169 // copy acc to vreg[106]
v_accvgpr_read_b32 v[vgprValuC+123], acc173 // copy acc to vreg[107]
v_accvgpr_read_b32 v[vgprValuC+124], acc177 // copy acc to vreg[108]
v_accvgpr_read_b32 v[vgprValuC+125], acc181 // copy acc to vreg[109]
v_accvgpr_read_b32 v[vgprValuC+126], acc185 // copy acc to vreg[110]
v_accvgpr_read_b32 v[vgprValuC+127], acc189 // copy acc to vreg[111]
v_accvgpr_read_b32 v[vgprValuC+128], acc193 // copy acc to vreg[112]
v_accvgpr_read_b32 v[vgprValuC+129], acc197 // copy acc to vreg[113]
v_accvgpr_read_b32 v[vgprValuC+130], acc201 // copy acc to vreg[114]
v_accvgpr_read_b32 v[vgprValuC+131], acc205 // copy acc to vreg[115]
v_accvgpr_read_b32 v[vgprValuC+132], acc209 // copy acc to vreg[116]
v_accvgpr_read_b32 v[vgprValuC+133], acc213 // copy acc to vreg[117]
v_accvgpr_read_b32 v[vgprValuC+134], acc217 // copy acc to vreg[118]
v_accvgpr_read_b32 v[vgprValuC+135], acc221 // copy acc to vreg[119]
v_accvgpr_read_b32 v[vgprValuC+136], acc225 // copy acc to vreg[120]
v_accvgpr_read_b32 v[vgprValuC+137], acc229 // copy acc to vreg[121]
v_accvgpr_read_b32 v[vgprValuC+138], acc233 // copy acc to vreg[122]
v_accvgpr_read_b32 v[vgprValuC+139], acc237 // copy acc to vreg[123]
v_accvgpr_read_b32 v[vgprValuC+140], acc241 // copy acc to vreg[124]
v_accvgpr_read_b32 v[vgprValuC+141], acc245 // copy acc to vreg[125]
v_accvgpr_read_b32 v[vgprValuC+142], acc249 // copy acc to vreg[126]
v_accvgpr_read_b32 v[vgprValuC+143], acc253 // copy acc to vreg[127]
v_accvgpr_read_b32 v[vgprValuC+144], acc2 // copy acc to vreg[128]
v_accvgpr_read_b32 v[vgprValuC+145], acc6 // copy acc to vreg[129]
v_accvgpr_read_b32 v[vgprValuC+146], acc10 // copy acc to vreg[130]
v_accvgpr_read_b32 v[vgprValuC+147], acc14 // copy acc to vreg[131]
v_accvgpr_read_b32 v[vgprValuC+148], acc18 // copy acc to vreg[132]
v_accvgpr_read_b32 v[vgprValuC+149], acc22 // copy acc to vreg[133]
v_accvgpr_read_b32 v[vgprValuC+150], acc26 // copy acc to vreg[134]
v_accvgpr_read_b32 v[vgprValuC+151], acc30 // copy acc to vreg[135]
v_accvgpr_read_b32 v[vgprValuC+152], acc34 // copy acc to vreg[136]
v_accvgpr_read_b32 v[vgprValuC+153], acc38 // copy acc to vreg[137]
v_accvgpr_read_b32 v[vgprValuC+154], acc42 // copy acc to vreg[138]
v_accvgpr_read_b32 v[vgprValuC+155], acc46 // copy acc to vreg[139]
v_accvgpr_read_b32 v[vgprValuC+156], acc50 // copy acc to vreg[140]
v_accvgpr_read_b32 v[vgprValuC+157], acc54 // copy acc to vreg[141]
v_accvgpr_read_b32 v[vgprValuC+158], acc58 // copy acc to vreg[142]
v_accvgpr_read_b32 v[vgprValuC+159], acc62 // copy acc to vreg[143]
v_accvgpr_read_b32 v[vgprValuC+160], acc66 // copy acc to vreg[144]
v_accvgpr_read_b32 v[vgprValuC+161], acc70 // copy acc to vreg[145]
v_accvgpr_read_b32 v[vgprValuC+162], acc74 // copy acc to vreg[146]
v_accvgpr_read_b32 v[vgprValuC+163], acc78 // copy acc to vreg[147]
v_accvgpr_read_b32 v[vgprValuC+164], acc82 // copy acc to vreg[148]
v_accvgpr_read_b32 v[vgprValuC+165], acc86 // copy acc to vreg[149]
v_accvgpr_read_b32 v[vgprValuC+166], acc90 // copy acc to vreg[150]
v_accvgpr_read_b32 v[vgprValuC+167], acc94 // copy acc to vreg[151]
v_accvgpr_read_b32 v[vgprValuC+168], acc98 // copy acc to vreg[152]
v_accvgpr_read_b32 v[vgprValuC+169], acc102 // copy acc to vreg[153]
v_accvgpr_read_b32 v[vgprValuC+170], acc106 // copy acc to vreg[154]
v_accvgpr_read_b32 v[vgprValuC+171], acc110 // copy acc to vreg[155]
v_accvgpr_read_b32 v[vgprValuC+172], acc114 // copy acc to vreg[156]
v_accvgpr_read_b32 v[vgprValuC+173], acc118 // copy acc to vreg[157]
v_accvgpr_read_b32 v[vgprValuC+174], acc122 // copy acc to vreg[158]
v_accvgpr_read_b32 v[vgprValuC+175], acc126 // copy acc to vreg[159]
v_accvgpr_read_b32 v[vgprValuC+176], acc130 // copy acc to vreg[160]
v_accvgpr_read_b32 v[vgprValuC+177], acc134 // copy acc to vreg[161]
v_accvgpr_read_b32 v[vgprValuC+178], acc138 // copy acc to vreg[162]
v_accvgpr_read_b32 v[vgprValuC+179], acc142 // copy acc to vreg[163]
v_accvgpr_read_b32 v[vgprValuC+180], acc146 // copy acc to vreg[164]
v_accvgpr_read_b32 v[vgprValuC+181], acc150 // copy acc to vreg[165]
v_accvgpr_read_b32 v[vgprValuC+182], acc154 // copy acc to vreg[166]
v_accvgpr_read_b32 v[vgprValuC+183], acc158 // copy acc to vreg[167]
v_accvgpr_read_b32 v[vgprValuC+184], acc162 // copy acc to vreg[168]
v_accvgpr_read_b32 v[vgprValuC+185], acc166 // copy acc to vreg[169]
v_accvgpr_read_b32 v[vgprValuC+186], acc170 // copy acc to vreg[170]
v_accvgpr_read_b32 v[vgprValuC+187], acc174 // copy acc to vreg[171]
v_accvgpr_read_b32 v[vgprValuC+188], acc178 // copy acc to vreg[172]
v_accvgpr_read_b32 v[vgprValuC+189], acc182 // copy acc to vreg[173]
v_accvgpr_read_b32 v[vgprValuC+190], acc186 // copy acc to vreg[174]
v_accvgpr_read_b32 v[vgprValuC+191], acc190 // copy acc to vreg[175]
v_accvgpr_read_b32 v[vgprValuC+192], acc194 // copy acc to vreg[176]
v_accvgpr_read_b32 v[vgprValuC+193], acc198 // copy acc to vreg[177]
v_accvgpr_read_b32 v[vgprValuC+194], acc202 // copy acc to vreg[178]
v_accvgpr_read_b32 v[vgprValuC+195], acc206 // copy acc to vreg[179]
v_accvgpr_read_b32 v[vgprValuC+196], acc210 // copy acc to vreg[180]
v_accvgpr_read_b32 v[vgprValuC+197], acc214 // copy acc to vreg[181]
v_accvgpr_read_b32 v[vgprValuC+198], acc218 // copy acc to vreg[182]
v_accvgpr_read_b32 v[vgprValuC+199], acc222 // copy acc to vreg[183]
v_accvgpr_read_b32 v[vgprValuC+200], acc226 // copy acc to vreg[184]
v_accvgpr_read_b32 v[vgprValuC+201], acc230 // copy acc to vreg[185]
v_accvgpr_read_b32 v[vgprValuC+202], acc234 // copy acc to vreg[186]
v_accvgpr_read_b32 v[vgprValuC+203], acc238 // copy acc to vreg[187]
v_accvgpr_read_b32 v[vgprValuC+204], acc242 // copy acc to vreg[188]
v_accvgpr_read_b32 v[vgprValuC+205], acc246 // copy acc to vreg[189]
v_accvgpr_read_b32 v[vgprValuC+206], acc250 // copy acc to vreg[190]
v_accvgpr_read_b32 v[vgprValuC+207], acc254 // copy acc to vreg[191]
v_accvgpr_read_b32 v[vgprValuC+208], acc3 // copy acc to vreg[192]
v_accvgpr_read_b32 v[vgprValuC+209], acc7 // copy acc to vreg[193]
v_accvgpr_read_b32 v[vgprValuC+210], acc11 // copy acc to vreg[194]
v_accvgpr_read_b32 v[vgprValuC+211], acc15 // copy acc to vreg[195]
v_accvgpr_read_b32 v[vgprValuC+212], acc19 // copy acc to vreg[196]
v_accvgpr_read_b32 v[vgprValuC+213], acc23 // copy acc to vreg[197]
v_accvgpr_read_b32 v[vgprValuC+214], acc27 // copy acc to vreg[198]
v_accvgpr_read_b32 v[vgprValuC+215], acc31 // copy acc to vreg[199]
v_accvgpr_read_b32 v[vgprValuC+216], acc35 // copy acc to vreg[200]
v_accvgpr_read_b32 v[vgprValuC+217], acc39 // copy acc to vreg[201]
v_accvgpr_read_b32 v[vgprValuC+218], acc43 // copy acc to vreg[202]
v_accvgpr_read_b32 v[vgprValuC+219], acc47 // copy acc to vreg[203]
v_accvgpr_read_b32 v[vgprValuC+220], acc51 // copy acc to vreg[204]
v_accvgpr_read_b32 v[vgprValuC+221], acc55 // copy acc to vreg[205]
v_accvgpr_read_b32 v[vgprValuC+222], acc59 // copy acc to vreg[206]
v_accvgpr_read_b32 v[vgprValuC+223], acc63 // copy acc to vreg[207]
v_accvgpr_read_b32 v[vgprValuC+232], acc67 // copy acc to vreg[208]
v_accvgpr_read_b32 v[vgprValuC+233], acc71 // copy acc to vreg[209]
v_accvgpr_read_b32 v[vgprValuC+234], acc75 // copy acc to vreg[210]
v_accvgpr_read_b32 v[vgprValuC+235], acc79 // copy acc to vreg[211]
v_accvgpr_read_b32 v[vgprValuC+236], acc83 // copy acc to vreg[212]
v_accvgpr_read_b32 v[vgprValuC+237], acc87 // copy acc to vreg[213]
v_accvgpr_read_b32 v[vgprValuC+238], acc91 // copy acc to vreg[214]
v_accvgpr_read_b32 v[vgprValuC+239], acc95 // copy acc to vreg[215]
v_accvgpr_read_b32 v[vgprValuC+240], acc99 // copy acc to vreg[216]
v_accvgpr_read_b32 v[vgprValuC+241], acc103 // copy acc to vreg[217]
v_accvgpr_read_b32 v[vgprValuC+242], acc107 // copy acc to vreg[218]
v_accvgpr_read_b32 v[vgprValuC+243], acc111 // copy acc to vreg[219]
v_accvgpr_read_b32 v[vgprValuC+244], acc115 // copy acc to vreg[220]
v_accvgpr_read_b32 v[vgprValuC+245], acc119 // copy acc to vreg[221]
v_accvgpr_read_b32 v[vgprValuC+246], acc123 // copy acc to vreg[222]
v_accvgpr_read_b32 v[vgprValuC+247], acc127 // copy acc to vreg[223]
v_accvgpr_read_b32 v[vgprValuC+248], acc131 // copy acc to vreg[224]
v_accvgpr_read_b32 v[vgprValuC+249], acc135 // copy acc to vreg[225]
v_accvgpr_read_b32 v[vgprValuC+250], acc139 // copy acc to vreg[226]
v_accvgpr_read_b32 v[vgprValuC+251], acc143 // copy acc to vreg[227]
v_accvgpr_read_b32 v[vgprValuC+252], acc147 // copy acc to vreg[228]
v_accvgpr_read_b32 v[vgprValuC+253], acc151 // copy acc to vreg[229]
v_accvgpr_read_b32 v[vgprValuC+254], acc155 // copy acc to vreg[230]
v_accvgpr_read_b32 v[vgprValuC+255], acc159 // copy acc to vreg[231]
s_nop 1                                            // 2 wait states required before reading vgpr

/* rC *= alpha batchElements=[(0, 0, 0, 0), (0, 0, 1, 0), (0, 0, 2, 0), (0, 0, 3, 0), (0, 0, 4, 0), (0, 0, 5, 0), (0, 0, 6, 0), (0, 0, 7, 0), (0, 0, 8, 0), (0, 0, 9, 0), (0, 0, 10, 0), (0, 0, 11, 0), (0, 0, 12, 0), (0, 0, 13, 0), (0, 0, 14, 0), (0, 0, 15, 0), (0, 0, 16, 0), (0, 0, 17, 0), (0, 0, 18, 0), (0, 0, 19, 0), (0, 0, 20, 0), (0, 0, 21, 0), (0, 0, 22, 0), (0, 0, 23, 0), (0, 0, 24, 0), (0, 0, 25, 0), (0, 0, 26, 0), (0, 0, 27, 0), (0, 0, 28, 0)] */
v_mul_f32 v[vgprValuC+16], s[sgprAlpha], v[vgprValuC+16] // *= alpha
v_mul_f32 v[vgprValuC+17], s[sgprAlpha], v[vgprValuC+17] // *= alpha
	;; [unrolled: 1-line block ×232, first 2 shown]

/* apply mask, calc new C and issue writes */
v_mov_b32 v10, 0x207                               // flag for Nan and +/- inf
v_mov_b32 v8, 0x47600000                           // save 57344.0f as max for clipping
v_mov_b32 v9, 0xC7600000                           // save -57344`.0f as min for clipping
v_cmp_class_f32 s[52:53], v[vgprValuC+16], v10     // check NaN and +/-INF
v_med3_f32 v6, v[vgprValuC+16], v8, v9             // Clipping f32 value if exceeds the limit
v_cndmask_b32 v6, v6, v[vgprValuC+16], s[52:53]    // 
v_cmp_class_f32 s[52:53], v[vgprValuC+17], v10     // check NaN and +/-INF
v_med3_f32 v7, v[vgprValuC+17], v8, v9             // Clipping f32 value if exceeds the limit
v_cndmask_b32 v7, v7, v[vgprValuC+17], s[52:53]    // 
v_cvt_pk_bf8_f32  v16, v6, v7 op_sel:[0,0,0]       // convert two f32 accumulated values to fp8 and save it to lo_16[0:15]
v_cmp_class_f32 s[52:53], v[vgprValuC+18], v10     // check NaN and +/-INF
v_med3_f32 v6, v[vgprValuC+18], v8, v9             // Clipping f32 value if exceeds the limit
v_cndmask_b32 v6, v6, v[vgprValuC+18], s[52:53]    // 
v_cmp_class_f32 s[52:53], v[vgprValuC+19], v10     // check NaN and +/-INF
v_med3_f32 v7, v[vgprValuC+19], v8, v9             // Clipping f32 value if exceeds the limit
v_cndmask_b32 v7, v7, v[vgprValuC+19], s[52:53]    // 
v_cvt_pk_bf8_f32  v16, v6, v7 op_sel:[0,0,1]       // convert two f32 accumulated values to fp8 and save it to hi_16[16:31]
v_cmp_class_f32 s[52:53], v[vgprValuC+20], v10     // check NaN and +/-INF
v_med3_f32 v6, v[vgprValuC+20], v8, v9             // Clipping f32 value if exceeds the limit
v_cndmask_b32 v6, v6, v[vgprValuC+20], s[52:53]    // 
v_cmp_class_f32 s[52:53], v[vgprValuC+21], v10     // check NaN and +/-INF
v_med3_f32 v7, v[vgprValuC+21], v8, v9             // Clipping f32 value if exceeds the limit
v_cndmask_b32 v7, v7, v[vgprValuC+21], s[52:53]    // 
v_cvt_pk_bf8_f32  v17, v6, v7 op_sel:[0,0,0]       // convert two f32 accumulated values to fp8 and save it to lo_16[0:15]
v_cmp_class_f32 s[52:53], v[vgprValuC+22], v10     // check NaN and +/-INF
v_med3_f32 v6, v[vgprValuC+22], v8, v9             // Clipping f32 value if exceeds the limit
v_cndmask_b32 v6, v6, v[vgprValuC+22], s[52:53]    // 
v_cmp_class_f32 s[52:53], v[vgprValuC+23], v10     // check NaN and +/-INF
v_med3_f32 v7, v[vgprValuC+23], v8, v9             // Clipping f32 value if exceeds the limit
v_cndmask_b32 v7, v7, v[vgprValuC+23], s[52:53]    // 
v_cvt_pk_bf8_f32  v17, v6, v7 op_sel:[0,0,1]       // convert two f32 accumulated values to fp8 and save it to hi_16[16:31]
_buffer_store_b64 v[16:17], v11, s[sgprSrdD:sgprSrdD+3], 0, offen, offset:0,  sc0 sc1 // store D
v_cmp_class_f32 s[52:53], v[vgprValuC+24], v10     // check NaN and +/-INF
v_med3_f32 v6, v[vgprValuC+24], v8, v9             // Clipping f32 value if exceeds the limit
v_cndmask_b32 v6, v6, v[vgprValuC+24], s[52:53]    // 
v_cmp_class_f32 s[52:53], v[vgprValuC+25], v10     // check NaN and +/-INF
v_med3_f32 v7, v[vgprValuC+25], v8, v9             // Clipping f32 value if exceeds the limit
v_cndmask_b32 v7, v7, v[vgprValuC+25], s[52:53]    // 
v_cvt_pk_bf8_f32  v24, v6, v7 op_sel:[0,0,0]       // convert two f32 accumulated values to fp8 and save it to lo_16[0:15]
v_cmp_class_f32 s[52:53], v[vgprValuC+26], v10     // check NaN and +/-INF
v_med3_f32 v6, v[vgprValuC+26], v8, v9             // Clipping f32 value if exceeds the limit
v_cndmask_b32 v6, v6, v[vgprValuC+26], s[52:53]    // 
v_cmp_class_f32 s[52:53], v[vgprValuC+27], v10     // check NaN and +/-INF
v_med3_f32 v7, v[vgprValuC+27], v8, v9             // Clipping f32 value if exceeds the limit
v_cndmask_b32 v7, v7, v[vgprValuC+27], s[52:53]    // 
v_cvt_pk_bf8_f32  v24, v6, v7 op_sel:[0,0,1]       // convert two f32 accumulated values to fp8 and save it to hi_16[16:31]
v_cmp_class_f32 s[52:53], v[vgprValuC+28], v10     // check NaN and +/-INF
v_med3_f32 v6, v[vgprValuC+28], v8, v9             // Clipping f32 value if exceeds the limit
v_cndmask_b32 v6, v6, v[vgprValuC+28], s[52:53]    // 
v_cmp_class_f32 s[52:53], v[vgprValuC+29], v10     // check NaN and +/-INF
v_med3_f32 v7, v[vgprValuC+29], v8, v9             // Clipping f32 value if exceeds the limit
v_cndmask_b32 v7, v7, v[vgprValuC+29], s[52:53]    // 
v_cvt_pk_bf8_f32  v25, v6, v7 op_sel:[0,0,0]       // convert two f32 accumulated values to fp8 and save it to lo_16[0:15]
v_cmp_class_f32 s[52:53], v[vgprValuC+30], v10     // check NaN and +/-INF
v_med3_f32 v6, v[vgprValuC+30], v8, v9             // Clipping f32 value if exceeds the limit
v_cndmask_b32 v6, v6, v[vgprValuC+30], s[52:53]    // 
v_cmp_class_f32 s[52:53], v[vgprValuC+31], v10     // check NaN and +/-INF
v_med3_f32 v7, v[vgprValuC+31], v8, v9             // Clipping f32 value if exceeds the limit
v_cndmask_b32 v7, v7, v[vgprValuC+31], s[52:53]    // 
v_cvt_pk_bf8_f32  v25, v6, v7 op_sel:[0,0,1]       // convert two f32 accumulated values to fp8 and save it to hi_16[16:31]
s_lshl_b32  s52, s[sgprStrideD1J], 0               // incToNextRow: Scale by BPE
s_add_u32  s[sgprSrdD+0], s[sgprSrdD+0], s52       // incToNextRow: gra SRD += inc(lower)
s_addc_u32  s[sgprSrdD+1], s[sgprSrdD+1], 0        // incToNextRow: gra SRD += inc(upper)
_buffer_store_b64 v[24:25], v11, s[sgprSrdD:sgprSrdD+3], 0, offen, offset:0,  sc0 sc1 // store D
v_cmp_class_f32 s[52:53], v[vgprValuC+32], v10     // check NaN and +/-INF
v_med3_f32 v6, v[vgprValuC+32], v8, v9             // Clipping f32 value if exceeds the limit
v_cndmask_b32 v6, v6, v[vgprValuC+32], s[52:53]    // 
v_cmp_class_f32 s[52:53], v[vgprValuC+33], v10     // check NaN and +/-INF
v_med3_f32 v7, v[vgprValuC+33], v8, v9             // Clipping f32 value if exceeds the limit
v_cndmask_b32 v7, v7, v[vgprValuC+33], s[52:53]    // 
v_cvt_pk_bf8_f32  v32, v6, v7 op_sel:[0,0,0]       // convert two f32 accumulated values to fp8 and save it to lo_16[0:15]
v_cmp_class_f32 s[52:53], v[vgprValuC+34], v10     // check NaN and +/-INF
v_med3_f32 v6, v[vgprValuC+34], v8, v9             // Clipping f32 value if exceeds the limit
v_cndmask_b32 v6, v6, v[vgprValuC+34], s[52:53]    // 
v_cmp_class_f32 s[52:53], v[vgprValuC+35], v10     // check NaN and +/-INF
v_med3_f32 v7, v[vgprValuC+35], v8, v9             // Clipping f32 value if exceeds the limit
v_cndmask_b32 v7, v7, v[vgprValuC+35], s[52:53]    // 
v_cvt_pk_bf8_f32  v32, v6, v7 op_sel:[0,0,1]       // convert two f32 accumulated values to fp8 and save it to hi_16[16:31]
v_cmp_class_f32 s[52:53], v[vgprValuC+36], v10     // check NaN and +/-INF
v_med3_f32 v6, v[vgprValuC+36], v8, v9             // Clipping f32 value if exceeds the limit
v_cndmask_b32 v6, v6, v[vgprValuC+36], s[52:53]    // 
v_cmp_class_f32 s[52:53], v[vgprValuC+37], v10     // check NaN and +/-INF
v_med3_f32 v7, v[vgprValuC+37], v8, v9             // Clipping f32 value if exceeds the limit
v_cndmask_b32 v7, v7, v[vgprValuC+37], s[52:53]    // 
v_cvt_pk_bf8_f32  v33, v6, v7 op_sel:[0,0,0]       // convert two f32 accumulated values to fp8 and save it to lo_16[0:15]
v_cmp_class_f32 s[52:53], v[vgprValuC+38], v10     // check NaN and +/-INF
v_med3_f32 v6, v[vgprValuC+38], v8, v9             // Clipping f32 value if exceeds the limit
v_cndmask_b32 v6, v6, v[vgprValuC+38], s[52:53]    // 
v_cmp_class_f32 s[52:53], v[vgprValuC+39], v10     // check NaN and +/-INF
v_med3_f32 v7, v[vgprValuC+39], v8, v9             // Clipping f32 value if exceeds the limit
v_cndmask_b32 v7, v7, v[vgprValuC+39], s[52:53]    // 
v_cvt_pk_bf8_f32  v33, v6, v7 op_sel:[0,0,1]       // convert two f32 accumulated values to fp8 and save it to hi_16[16:31]
s_lshl_b32  s52, s[sgprStrideD1J], 0               // incToNextRow: Scale by BPE
s_add_u32  s[sgprSrdD+0], s[sgprSrdD+0], s52       // incToNextRow: gra SRD += inc(lower)
s_addc_u32  s[sgprSrdD+1], s[sgprSrdD+1], 0        // incToNextRow: gra SRD += inc(upper)
	;; [unrolled: 32-line block ×9, first 2 shown]
_buffer_store_b64 v[88:89], v11, s[sgprSrdD:sgprSrdD+3], 0, offen, offset:0,  sc0 sc1 // store D
v_cmp_class_f32 s[52:53], v[vgprValuC+96], v10     // check NaN and +/-INF
v_med3_f32 v6, v[vgprValuC+96], v8, v9             // Clipping f32 value if exceeds the limit
v_cndmask_b32 v6, v6, v[vgprValuC+96], s[52:53]    // 
v_cmp_class_f32 s[52:53], v[vgprValuC+97], v10     // check NaN and +/-INF
v_med3_f32 v7, v[vgprValuC+97], v8, v9             // Clipping f32 value if exceeds the limit
v_cndmask_b32 v7, v7, v[vgprValuC+97], s[52:53]    // 
v_cvt_pk_bf8_f32  v96, v6, v7 op_sel:[0,0,0]       // convert two f32 accumulated values to fp8 and save it to lo_16[0:15]
v_cmp_class_f32 s[52:53], v[vgprValuC+98], v10     // check NaN and +/-INF
v_med3_f32 v6, v[vgprValuC+98], v8, v9             // Clipping f32 value if exceeds the limit
v_cndmask_b32 v6, v6, v[vgprValuC+98], s[52:53]    // 
v_cmp_class_f32 s[52:53], v[vgprValuC+99], v10     // check NaN and +/-INF
v_med3_f32 v7, v[vgprValuC+99], v8, v9             // Clipping f32 value if exceeds the limit
v_cndmask_b32 v7, v7, v[vgprValuC+99], s[52:53]    // 
v_cvt_pk_bf8_f32  v96, v6, v7 op_sel:[0,0,1]       // convert two f32 accumulated values to fp8 and save it to hi_16[16:31]
v_cmp_class_f32 s[52:53], v[vgprValuC+100], v10    // check NaN and +/-INF
v_med3_f32 v6, v[vgprValuC+100], v8, v9            // Clipping f32 value if exceeds the limit
v_cndmask_b32 v6, v6, v[vgprValuC+100], s[52:53]   // 
v_cmp_class_f32 s[52:53], v[vgprValuC+101], v10    // check NaN and +/-INF
v_med3_f32 v7, v[vgprValuC+101], v8, v9            // Clipping f32 value if exceeds the limit
v_cndmask_b32 v7, v7, v[vgprValuC+101], s[52:53]   // 
v_cvt_pk_bf8_f32  v97, v6, v7 op_sel:[0,0,0]       // convert two f32 accumulated values to fp8 and save it to lo_16[0:15]
v_cmp_class_f32 s[52:53], v[vgprValuC+102], v10    // check NaN and +/-INF
v_med3_f32 v6, v[vgprValuC+102], v8, v9            // Clipping f32 value if exceeds the limit
v_cndmask_b32 v6, v6, v[vgprValuC+102], s[52:53]   // 
v_cmp_class_f32 s[52:53], v[vgprValuC+103], v10    // check NaN and +/-INF
v_med3_f32 v7, v[vgprValuC+103], v8, v9            // Clipping f32 value if exceeds the limit
v_cndmask_b32 v7, v7, v[vgprValuC+103], s[52:53]   // 
v_cvt_pk_bf8_f32  v97, v6, v7 op_sel:[0,0,1]       // convert two f32 accumulated values to fp8 and save it to hi_16[16:31]
s_lshl_b32  s52, s[sgprStrideD1J], 0               // incToNextRow: Scale by BPE
s_add_u32  s[sgprSrdD+0], s[sgprSrdD+0], s52       // incToNextRow: gra SRD += inc(lower)
s_addc_u32  s[sgprSrdD+1], s[sgprSrdD+1], 0        // incToNextRow: gra SRD += inc(upper)
_buffer_store_b64 v[96:97], v11, s[sgprSrdD:sgprSrdD+3], 0, offen, offset:0,  sc0 sc1 // store D
v_cmp_class_f32 s[52:53], v[vgprValuC+104], v10    // check NaN and +/-INF
v_med3_f32 v6, v[vgprValuC+104], v8, v9            // Clipping f32 value if exceeds the limit
v_cndmask_b32 v6, v6, v[vgprValuC+104], s[52:53]   // 
v_cmp_class_f32 s[52:53], v[vgprValuC+105], v10    // check NaN and +/-INF
v_med3_f32 v7, v[vgprValuC+105], v8, v9            // Clipping f32 value if exceeds the limit
v_cndmask_b32 v7, v7, v[vgprValuC+105], s[52:53]   // 
v_cvt_pk_bf8_f32  v104, v6, v7 op_sel:[0,0,0]      // convert two f32 accumulated values to fp8 and save it to lo_16[0:15]
v_cmp_class_f32 s[52:53], v[vgprValuC+106], v10    // check NaN and +/-INF
v_med3_f32 v6, v[vgprValuC+106], v8, v9            // Clipping f32 value if exceeds the limit
v_cndmask_b32 v6, v6, v[vgprValuC+106], s[52:53]   // 
v_cmp_class_f32 s[52:53], v[vgprValuC+107], v10    // check NaN and +/-INF
v_med3_f32 v7, v[vgprValuC+107], v8, v9            // Clipping f32 value if exceeds the limit
v_cndmask_b32 v7, v7, v[vgprValuC+107], s[52:53]   // 
v_cvt_pk_bf8_f32  v104, v6, v7 op_sel:[0,0,1]      // convert two f32 accumulated values to fp8 and save it to hi_16[16:31]
v_cmp_class_f32 s[52:53], v[vgprValuC+108], v10    // check NaN and +/-INF
v_med3_f32 v6, v[vgprValuC+108], v8, v9            // Clipping f32 value if exceeds the limit
v_cndmask_b32 v6, v6, v[vgprValuC+108], s[52:53]   // 
v_cmp_class_f32 s[52:53], v[vgprValuC+109], v10    // check NaN and +/-INF
v_med3_f32 v7, v[vgprValuC+109], v8, v9            // Clipping f32 value if exceeds the limit
v_cndmask_b32 v7, v7, v[vgprValuC+109], s[52:53]   // 
v_cvt_pk_bf8_f32  v105, v6, v7 op_sel:[0,0,0]      // convert two f32 accumulated values to fp8 and save it to lo_16[0:15]
v_cmp_class_f32 s[52:53], v[vgprValuC+110], v10    // check NaN and +/-INF
v_med3_f32 v6, v[vgprValuC+110], v8, v9            // Clipping f32 value if exceeds the limit
v_cndmask_b32 v6, v6, v[vgprValuC+110], s[52:53]   // 
v_cmp_class_f32 s[52:53], v[vgprValuC+111], v10    // check NaN and +/-INF
v_med3_f32 v7, v[vgprValuC+111], v8, v9            // Clipping f32 value if exceeds the limit
v_cndmask_b32 v7, v7, v[vgprValuC+111], s[52:53]   // 
v_cvt_pk_bf8_f32  v105, v6, v7 op_sel:[0,0,1]      // convert two f32 accumulated values to fp8 and save it to hi_16[16:31]
s_lshl_b32  s52, s[sgprStrideD1J], 0               // incToNextRow: Scale by BPE
s_add_u32  s[sgprSrdD+0], s[sgprSrdD+0], s52       // incToNextRow: gra SRD += inc(lower)
s_addc_u32  s[sgprSrdD+1], s[sgprSrdD+1], 0        // incToNextRow: gra SRD += inc(upper)
_buffer_store_b64 v[104:105], v11, s[sgprSrdD:sgprSrdD+3], 0, offen, offset:0,  sc0 sc1 // store D
v_cmp_class_f32 s[52:53], v[vgprValuC+112], v10    // check NaN and +/-INF
v_med3_f32 v6, v[vgprValuC+112], v8, v9            // Clipping f32 value if exceeds the limit
v_cndmask_b32 v6, v6, v[vgprValuC+112], s[52:53]   // 
v_cmp_class_f32 s[52:53], v[vgprValuC+113], v10    // check NaN and +/-INF
v_med3_f32 v7, v[vgprValuC+113], v8, v9            // Clipping f32 value if exceeds the limit
v_cndmask_b32 v7, v7, v[vgprValuC+113], s[52:53]   // 
v_cvt_pk_bf8_f32  v112, v6, v7 op_sel:[0,0,0]      // convert two f32 accumulated values to fp8 and save it to lo_16[0:15]
v_cmp_class_f32 s[52:53], v[vgprValuC+114], v10    // check NaN and +/-INF
v_med3_f32 v6, v[vgprValuC+114], v8, v9            // Clipping f32 value if exceeds the limit
v_cndmask_b32 v6, v6, v[vgprValuC+114], s[52:53]   // 
v_cmp_class_f32 s[52:53], v[vgprValuC+115], v10    // check NaN and +/-INF
v_med3_f32 v7, v[vgprValuC+115], v8, v9            // Clipping f32 value if exceeds the limit
v_cndmask_b32 v7, v7, v[vgprValuC+115], s[52:53]   // 
v_cvt_pk_bf8_f32  v112, v6, v7 op_sel:[0,0,1]      // convert two f32 accumulated values to fp8 and save it to hi_16[16:31]
v_cmp_class_f32 s[52:53], v[vgprValuC+116], v10    // check NaN and +/-INF
v_med3_f32 v6, v[vgprValuC+116], v8, v9            // Clipping f32 value if exceeds the limit
v_cndmask_b32 v6, v6, v[vgprValuC+116], s[52:53]   // 
v_cmp_class_f32 s[52:53], v[vgprValuC+117], v10    // check NaN and +/-INF
v_med3_f32 v7, v[vgprValuC+117], v8, v9            // Clipping f32 value if exceeds the limit
v_cndmask_b32 v7, v7, v[vgprValuC+117], s[52:53]   // 
v_cvt_pk_bf8_f32  v113, v6, v7 op_sel:[0,0,0]      // convert two f32 accumulated values to fp8 and save it to lo_16[0:15]
v_cmp_class_f32 s[52:53], v[vgprValuC+118], v10    // check NaN and +/-INF
v_med3_f32 v6, v[vgprValuC+118], v8, v9            // Clipping f32 value if exceeds the limit
v_cndmask_b32 v6, v6, v[vgprValuC+118], s[52:53]   // 
v_cmp_class_f32 s[52:53], v[vgprValuC+119], v10    // check NaN and +/-INF
v_med3_f32 v7, v[vgprValuC+119], v8, v9            // Clipping f32 value if exceeds the limit
v_cndmask_b32 v7, v7, v[vgprValuC+119], s[52:53]   // 
v_cvt_pk_bf8_f32  v113, v6, v7 op_sel:[0,0,1]      // convert two f32 accumulated values to fp8 and save it to hi_16[16:31]
	;; [unrolled: 32-line block ×18, first 2 shown]
s_lshl_b32  s52, s[sgprStrideD1J], 0               // incToNextRow: Scale by BPE
s_add_u32  s[sgprSrdD+0], s[sgprSrdD+0], s52       // incToNextRow: gra SRD += inc(lower)
s_addc_u32  s[sgprSrdD+1], s[sgprSrdD+1], 0        // incToNextRow: gra SRD += inc(upper)
_buffer_store_b64 v[248:249], v11, s[sgprSrdD:sgprSrdD+3], 0, offen, offset:0,  sc0 sc1 // store D
s_nop 0                                            // 1 wait state required when next inst writes vgprs held by previous dwordx4 store inst
/* optSingleColVgpr=1 optSharedColVgpr=0 optSGPRUsage=BufferLoad_Mask optSrdIncForRow=1 */

/******************************************/
/* Global Write Alpha Batch #1 (d1,d0,vc1,vc0) = */
/*    (0,0,29,0:vw8); (0,0,30,0:vw8); (0,0,31,0:vw8) */
/******************************************/

/* calc coords, apply mask, and issue loads (if necessary) */
/* (d1,vc1,d0,vc0)=(0,29,0,0) */
/* (d1,vc1,d0,vc0)=(0,30,0,0) */
	;; [unrolled: 1-line block ×3, first 2 shown]
v_accvgpr_read_b32 v[vgprValuC+16], acc163 // copy acc to vreg[232]
v_accvgpr_read_b32 v[vgprValuC+17], acc167 // copy acc to vreg[233]
v_accvgpr_read_b32 v[vgprValuC+18], acc171 // copy acc to vreg[234]
v_accvgpr_read_b32 v[vgprValuC+19], acc175 // copy acc to vreg[235]
v_accvgpr_read_b32 v[vgprValuC+20], acc179 // copy acc to vreg[236]
v_accvgpr_read_b32 v[vgprValuC+21], acc183 // copy acc to vreg[237]
v_accvgpr_read_b32 v[vgprValuC+22], acc187 // copy acc to vreg[238]
v_accvgpr_read_b32 v[vgprValuC+23], acc191 // copy acc to vreg[239]
v_accvgpr_read_b32 v[vgprValuC+24], acc195 // copy acc to vreg[240]
v_accvgpr_read_b32 v[vgprValuC+25], acc199 // copy acc to vreg[241]
v_accvgpr_read_b32 v[vgprValuC+26], acc203 // copy acc to vreg[242]
v_accvgpr_read_b32 v[vgprValuC+27], acc207 // copy acc to vreg[243]
v_accvgpr_read_b32 v[vgprValuC+28], acc211 // copy acc to vreg[244]
v_accvgpr_read_b32 v[vgprValuC+29], acc215 // copy acc to vreg[245]
v_accvgpr_read_b32 v[vgprValuC+30], acc219 // copy acc to vreg[246]
v_accvgpr_read_b32 v[vgprValuC+31], acc223 // copy acc to vreg[247]
v_accvgpr_read_b32 v[vgprValuC+32], acc227 // copy acc to vreg[248]
v_accvgpr_read_b32 v[vgprValuC+33], acc231 // copy acc to vreg[249]
v_accvgpr_read_b32 v[vgprValuC+34], acc235 // copy acc to vreg[250]
v_accvgpr_read_b32 v[vgprValuC+35], acc239 // copy acc to vreg[251]
v_accvgpr_read_b32 v[vgprValuC+36], acc243 // copy acc to vreg[252]
v_accvgpr_read_b32 v[vgprValuC+37], acc247 // copy acc to vreg[253]
v_accvgpr_read_b32 v[vgprValuC+38], acc251 // copy acc to vreg[254]
v_accvgpr_read_b32 v[vgprValuC+39], acc255 // copy acc to vreg[255]
s_nop 1                                            // 2 wait states required before reading vgpr

/* rC *= alpha batchElements=[(0, 0, 29, 0), (0, 0, 30, 0), (0, 0, 31, 0)] */
v_mul_f32 v[vgprValuC+16], s[sgprAlpha], v[vgprValuC+16] // *= alpha
v_mul_f32 v[vgprValuC+17], s[sgprAlpha], v[vgprValuC+17] // *= alpha
	;; [unrolled: 1-line block ×24, first 2 shown]

/* apply mask, calc new C and issue writes */
v_mov_b32 v10, 0x207                               // flag for Nan and +/- inf
v_mov_b32 v8, 0x47600000                           // save 57344.0f as max for clipping
v_mov_b32 v9, 0xC7600000                           // save -57344`.0f as min for clipping
v_cmp_class_f32 s[52:53], v[vgprValuC+16], v10     // check NaN and +/-INF
v_med3_f32 v6, v[vgprValuC+16], v8, v9             // Clipping f32 value if exceeds the limit
v_cndmask_b32 v6, v6, v[vgprValuC+16], s[52:53]    // 
v_cmp_class_f32 s[52:53], v[vgprValuC+17], v10     // check NaN and +/-INF
v_med3_f32 v7, v[vgprValuC+17], v8, v9             // Clipping f32 value if exceeds the limit
v_cndmask_b32 v7, v7, v[vgprValuC+17], s[52:53]    // 
v_cvt_pk_bf8_f32  v16, v6, v7 op_sel:[0,0,0]       // convert two f32 accumulated values to fp8 and save it to lo_16[0:15]
v_cmp_class_f32 s[52:53], v[vgprValuC+18], v10     // check NaN and +/-INF
v_med3_f32 v6, v[vgprValuC+18], v8, v9             // Clipping f32 value if exceeds the limit
v_cndmask_b32 v6, v6, v[vgprValuC+18], s[52:53]    // 
v_cmp_class_f32 s[52:53], v[vgprValuC+19], v10     // check NaN and +/-INF
v_med3_f32 v7, v[vgprValuC+19], v8, v9             // Clipping f32 value if exceeds the limit
v_cndmask_b32 v7, v7, v[vgprValuC+19], s[52:53]    // 
v_cvt_pk_bf8_f32  v16, v6, v7 op_sel:[0,0,1]       // convert two f32 accumulated values to fp8 and save it to hi_16[16:31]
v_cmp_class_f32 s[52:53], v[vgprValuC+20], v10     // check NaN and +/-INF
v_med3_f32 v6, v[vgprValuC+20], v8, v9             // Clipping f32 value if exceeds the limit
v_cndmask_b32 v6, v6, v[vgprValuC+20], s[52:53]    // 
v_cmp_class_f32 s[52:53], v[vgprValuC+21], v10     // check NaN and +/-INF
v_med3_f32 v7, v[vgprValuC+21], v8, v9             // Clipping f32 value if exceeds the limit
v_cndmask_b32 v7, v7, v[vgprValuC+21], s[52:53]    // 
v_cvt_pk_bf8_f32  v17, v6, v7 op_sel:[0,0,0]       // convert two f32 accumulated values to fp8 and save it to lo_16[0:15]
v_cmp_class_f32 s[52:53], v[vgprValuC+22], v10     // check NaN and +/-INF
v_med3_f32 v6, v[vgprValuC+22], v8, v9             // Clipping f32 value if exceeds the limit
v_cndmask_b32 v6, v6, v[vgprValuC+22], s[52:53]    // 
v_cmp_class_f32 s[52:53], v[vgprValuC+23], v10     // check NaN and +/-INF
v_med3_f32 v7, v[vgprValuC+23], v8, v9             // Clipping f32 value if exceeds the limit
v_cndmask_b32 v7, v7, v[vgprValuC+23], s[52:53]    // 
v_cvt_pk_bf8_f32  v17, v6, v7 op_sel:[0,0,1]       // convert two f32 accumulated values to fp8 and save it to hi_16[16:31]
s_lshl_b32  s52, s[sgprStrideD1J], 0               // incToNextRow: Scale by BPE
s_add_u32  s[sgprSrdD+0], s[sgprSrdD+0], s52       // incToNextRow: gra SRD += inc(lower)
s_addc_u32  s[sgprSrdD+1], s[sgprSrdD+1], 0        // incToNextRow: gra SRD += inc(upper)
_buffer_store_b64 v[16:17], v11, s[sgprSrdD:sgprSrdD+3], 0, offen, offset:0,  sc0 sc1 // store D
v_cmp_class_f32 s[52:53], v[vgprValuC+24], v10     // check NaN and +/-INF
v_med3_f32 v6, v[vgprValuC+24], v8, v9             // Clipping f32 value if exceeds the limit
v_cndmask_b32 v6, v6, v[vgprValuC+24], s[52:53]    // 
v_cmp_class_f32 s[52:53], v[vgprValuC+25], v10     // check NaN and +/-INF
v_med3_f32 v7, v[vgprValuC+25], v8, v9             // Clipping f32 value if exceeds the limit
v_cndmask_b32 v7, v7, v[vgprValuC+25], s[52:53]    // 
v_cvt_pk_bf8_f32  v24, v6, v7 op_sel:[0,0,0]       // convert two f32 accumulated values to fp8 and save it to lo_16[0:15]
v_cmp_class_f32 s[52:53], v[vgprValuC+26], v10     // check NaN and +/-INF
v_med3_f32 v6, v[vgprValuC+26], v8, v9             // Clipping f32 value if exceeds the limit
v_cndmask_b32 v6, v6, v[vgprValuC+26], s[52:53]    // 
v_cmp_class_f32 s[52:53], v[vgprValuC+27], v10     // check NaN and +/-INF
v_med3_f32 v7, v[vgprValuC+27], v8, v9             // Clipping f32 value if exceeds the limit
v_cndmask_b32 v7, v7, v[vgprValuC+27], s[52:53]    // 
v_cvt_pk_bf8_f32  v24, v6, v7 op_sel:[0,0,1]       // convert two f32 accumulated values to fp8 and save it to hi_16[16:31]
v_cmp_class_f32 s[52:53], v[vgprValuC+28], v10     // check NaN and +/-INF
v_med3_f32 v6, v[vgprValuC+28], v8, v9             // Clipping f32 value if exceeds the limit
v_cndmask_b32 v6, v6, v[vgprValuC+28], s[52:53]    // 
v_cmp_class_f32 s[52:53], v[vgprValuC+29], v10     // check NaN and +/-INF
v_med3_f32 v7, v[vgprValuC+29], v8, v9             // Clipping f32 value if exceeds the limit
v_cndmask_b32 v7, v7, v[vgprValuC+29], s[52:53]    // 
v_cvt_pk_bf8_f32  v25, v6, v7 op_sel:[0,0,0]       // convert two f32 accumulated values to fp8 and save it to lo_16[0:15]
v_cmp_class_f32 s[52:53], v[vgprValuC+30], v10     // check NaN and +/-INF
v_med3_f32 v6, v[vgprValuC+30], v8, v9             // Clipping f32 value if exceeds the limit
v_cndmask_b32 v6, v6, v[vgprValuC+30], s[52:53]    // 
v_cmp_class_f32 s[52:53], v[vgprValuC+31], v10     // check NaN and +/-INF
v_med3_f32 v7, v[vgprValuC+31], v8, v9             // Clipping f32 value if exceeds the limit
v_cndmask_b32 v7, v7, v[vgprValuC+31], s[52:53]    // 
v_cvt_pk_bf8_f32  v25, v6, v7 op_sel:[0,0,1]       // convert two f32 accumulated values to fp8 and save it to hi_16[16:31]
s_lshl_b32  s52, s[sgprStrideD1J], 0               // incToNextRow: Scale by BPE
s_add_u32  s[sgprSrdD+0], s[sgprSrdD+0], s52       // incToNextRow: gra SRD += inc(lower)
s_addc_u32  s[sgprSrdD+1], s[sgprSrdD+1], 0        // incToNextRow: gra SRD += inc(upper)
_buffer_store_b64 v[24:25], v11, s[sgprSrdD:sgprSrdD+3], 0, offen, offset:0,  sc0 sc1 // store D
	;; [unrolled: 32-line block ×3, first 2 shown]
s_nop 0                                            // 1 wait state required when next inst writes vgprs held by previous dwordx4 store inst
s_branch label_GW_End_48                           // jump to end
GW_B0_E1_40:

/* edge=1, allocate 6 sgpr. perBatchTmpS=4 perBatchMaskS=2 perElementMaskS=0 elementsPerBatch=25 */
/* optSingleColVgpr=0 optSharedColVgpr=0 optSGPRUsage=BufferLoad_Edge_Mask optSrdIncForRow=0 */

/******************************************/
/* Global Write Alpha Edge Batch #0 (d1,d0,vc1,vc0) = */
/*    (0,0,0,0:vw8); (0,0,1,0:vw8); (0,0,2,0:vw8); (0,0,3,0:vw8); (0,0,4,0:vw8); (0,0,5,0:vw8); (0,0,6,0:vw8); (0,0,7,0:vw8); (0,0,8,0:vw8); (0,0,9,0:vw8); (0,0,10,0:vw8); (0,0,11,0:vw8); (0,0,12,0:vw8); (0,0,13,0:vw8); (0,0,14,0:vw8); (0,0,15,0:vw8); (0,0,16,0:vw8); (0,0,17,0:vw8); (0,0,18,0:vw8); (0,0,19,0:vw8); (0,0,20,0:vw8); (0,0,21,0:vw8); (0,0,22,0:vw8); (0,0,23,0:vw8); (0,0,24,0:vw8) */
/******************************************/

/* calc coords, apply mask, and issue loads (if necessary) */
/* (d1,vc1,d0,vc0)=(0,0,0,0) */
v_cmp_lt_u32 s[52:53], v0, s[sgprSizeI]            // coord0 < size0
v_cmp_lt_u32 s[56:57], v1, s[sgprSizeJ]            // coord1 < size1
s_and_b64 s[56:57], s[52:53], s[56:57]             // in0 && in1
_v_add_lshl_u32 v11, v3, v0, 0x0                   // scaleToBpe: accumulate d0 lower and *= bpe into Cin addr
v_cndmask_b32 v11, -1, v11, s[56:57]               // LDD clip if OOB. offset
/* (d1,vc1,d0,vc0)=(0,1,0,0) */
_v_add_co_u32 v1, vcc, v1, 1                       // coord1.1: coord1Vgpr += d1*sg1*VW + vc1

/* Fix for UseInitialStridesCD, emitAddressSetupCode */
_v_add_u32 v2, v2, s[sgprStrideC1J]                // ROWINC- Move cinRowPtr to next row
_v_add_u32 v3, v3, s[sgprStrideD1J]                // Move coutRowPtr to next row
v_cmp_lt_u32 s[52:53], v0, s[sgprSizeI]            // coord0 < size0
v_cmp_lt_u32 s[56:57], v1, s[sgprSizeJ]            // coord1 < size1
s_and_b64 s[56:57], s[52:53], s[56:57]             // in0 && in1
_v_add_lshl_u32 v12, v3, v0, 0x0                   // scaleToBpe: accumulate d0 lower and *= bpe into Cin addr
v_cndmask_b32 v12, -1, v12, s[56:57]               // LDD clip if OOB. offset
/* (d1,vc1,d0,vc0)=(0,2,0,0) */
_v_add_co_u32 v1, vcc, v1, 1                       // coord1.1: coord1Vgpr += d1*sg1*VW + vc1

/* Fix for UseInitialStridesCD, emitAddressSetupCode */
_v_add_u32 v2, v2, s[sgprStrideC1J]                // ROWINC- Move cinRowPtr to next row
_v_add_u32 v3, v3, s[sgprStrideD1J]                // Move coutRowPtr to next row
	;; [unrolled: 11-line block ×13, first 2 shown]
v_cmp_lt_u32 s[52:53], v0, s[sgprSizeI]            // coord0 < size0
v_cmp_lt_u32 s[56:57], v1, s[sgprSizeJ]            // coord1 < size1
s_and_b64 s[56:57], s[52:53], s[56:57]             // in0 && in1
_v_add_lshl_u32 v128, v3, v0, 0x0                  // scaleToBpe: accumulate d0 lower and *= bpe into Cin addr
v_cndmask_b32 v128, -1, v128, s[56:57]             // LDD clip if OOB. offset
/* (d1,vc1,d0,vc0)=(0,14,0,0) */
_v_add_co_u32 v1, vcc, v1, 1                       // coord1.1: coord1Vgpr += d1*sg1*VW + vc1

/* Fix for UseInitialStridesCD, emitAddressSetupCode */
_v_add_u32 v2, v2, s[sgprStrideC1J]                // ROWINC- Move cinRowPtr to next row
_v_add_u32 v3, v3, s[sgprStrideD1J]                // Move coutRowPtr to next row
v_cmp_lt_u32 s[52:53], v0, s[sgprSizeI]            // coord0 < size0
v_cmp_lt_u32 s[56:57], v1, s[sgprSizeJ]            // coord1 < size1
s_and_b64 s[56:57], s[52:53], s[56:57]             // in0 && in1
_v_add_lshl_u32 v129, v3, v0, 0x0                  // scaleToBpe: accumulate d0 lower and *= bpe into Cin addr
v_cndmask_b32 v129, -1, v129, s[56:57]             // LDD clip if OOB. offset
/* (d1,vc1,d0,vc0)=(0,15,0,0) */
_v_add_co_u32 v1, vcc, v1, 1                       // coord1.1: coord1Vgpr += d1*sg1*VW + vc1

/* Fix for UseInitialStridesCD, emitAddressSetupCode */
_v_add_u32 v2, v2, s[sgprStrideC1J]                // ROWINC- Move cinRowPtr to next row
_v_add_u32 v3, v3, s[sgprStrideD1J]                // Move coutRowPtr to next row
	;; [unrolled: 11-line block ×11, first 2 shown]
v_cmp_lt_u32 s[52:53], v0, s[sgprSizeI]            // coord0 < size0
v_cmp_lt_u32 s[56:57], v1, s[sgprSizeJ]            // coord1 < size1
s_and_b64 s[56:57], s[52:53], s[56:57]             // in0 && in1
_v_add_lshl_u32 v203, v3, v0, 0x0                  // scaleToBpe: accumulate d0 lower and *= bpe into Cin addr
v_cndmask_b32 v203, -1, v203, s[56:57]             // LDD clip if OOB. offset
v_accvgpr_read_b32 v[vgprValuC+16], acc0 // copy acc to vreg[0]
v_accvgpr_read_b32 v[vgprValuC+17], acc4 // copy acc to vreg[1]
v_accvgpr_read_b32 v[vgprValuC+18], acc8 // copy acc to vreg[2]
v_accvgpr_read_b32 v[vgprValuC+19], acc12 // copy acc to vreg[3]
v_accvgpr_read_b32 v[vgprValuC+20], acc16 // copy acc to vreg[4]
v_accvgpr_read_b32 v[vgprValuC+21], acc20 // copy acc to vreg[5]
v_accvgpr_read_b32 v[vgprValuC+22], acc24 // copy acc to vreg[6]
v_accvgpr_read_b32 v[vgprValuC+23], acc28 // copy acc to vreg[7]
v_accvgpr_read_b32 v[vgprValuC+24], acc32 // copy acc to vreg[8]
v_accvgpr_read_b32 v[vgprValuC+25], acc36 // copy acc to vreg[9]
v_accvgpr_read_b32 v[vgprValuC+26], acc40 // copy acc to vreg[10]
v_accvgpr_read_b32 v[vgprValuC+27], acc44 // copy acc to vreg[11]
v_accvgpr_read_b32 v[vgprValuC+28], acc48 // copy acc to vreg[12]
v_accvgpr_read_b32 v[vgprValuC+29], acc52 // copy acc to vreg[13]
v_accvgpr_read_b32 v[vgprValuC+30], acc56 // copy acc to vreg[14]
v_accvgpr_read_b32 v[vgprValuC+31], acc60 // copy acc to vreg[15]
v_accvgpr_read_b32 v[vgprValuC+32], acc64 // copy acc to vreg[16]
v_accvgpr_read_b32 v[vgprValuC+33], acc68 // copy acc to vreg[17]
v_accvgpr_read_b32 v[vgprValuC+34], acc72 // copy acc to vreg[18]
v_accvgpr_read_b32 v[vgprValuC+35], acc76 // copy acc to vreg[19]
v_accvgpr_read_b32 v[vgprValuC+36], acc80 // copy acc to vreg[20]
v_accvgpr_read_b32 v[vgprValuC+37], acc84 // copy acc to vreg[21]
v_accvgpr_read_b32 v[vgprValuC+38], acc88 // copy acc to vreg[22]
v_accvgpr_read_b32 v[vgprValuC+39], acc92 // copy acc to vreg[23]
v_accvgpr_read_b32 v[vgprValuC+40], acc96 // copy acc to vreg[24]
v_accvgpr_read_b32 v[vgprValuC+41], acc100 // copy acc to vreg[25]
v_accvgpr_read_b32 v[vgprValuC+42], acc104 // copy acc to vreg[26]
v_accvgpr_read_b32 v[vgprValuC+43], acc108 // copy acc to vreg[27]
v_accvgpr_read_b32 v[vgprValuC+44], acc112 // copy acc to vreg[28]
v_accvgpr_read_b32 v[vgprValuC+45], acc116 // copy acc to vreg[29]
v_accvgpr_read_b32 v[vgprValuC+46], acc120 // copy acc to vreg[30]
v_accvgpr_read_b32 v[vgprValuC+47], acc124 // copy acc to vreg[31]
v_accvgpr_read_b32 v[vgprValuC+48], acc128 // copy acc to vreg[32]
v_accvgpr_read_b32 v[vgprValuC+49], acc132 // copy acc to vreg[33]
v_accvgpr_read_b32 v[vgprValuC+50], acc136 // copy acc to vreg[34]
v_accvgpr_read_b32 v[vgprValuC+51], acc140 // copy acc to vreg[35]
v_accvgpr_read_b32 v[vgprValuC+52], acc144 // copy acc to vreg[36]
v_accvgpr_read_b32 v[vgprValuC+53], acc148 // copy acc to vreg[37]
v_accvgpr_read_b32 v[vgprValuC+54], acc152 // copy acc to vreg[38]
v_accvgpr_read_b32 v[vgprValuC+55], acc156 // copy acc to vreg[39]
v_accvgpr_read_b32 v[vgprValuC+64], acc160 // copy acc to vreg[40]
v_accvgpr_read_b32 v[vgprValuC+65], acc164 // copy acc to vreg[41]
v_accvgpr_read_b32 v[vgprValuC+66], acc168 // copy acc to vreg[42]
v_accvgpr_read_b32 v[vgprValuC+67], acc172 // copy acc to vreg[43]
v_accvgpr_read_b32 v[vgprValuC+68], acc176 // copy acc to vreg[44]
v_accvgpr_read_b32 v[vgprValuC+69], acc180 // copy acc to vreg[45]
v_accvgpr_read_b32 v[vgprValuC+70], acc184 // copy acc to vreg[46]
v_accvgpr_read_b32 v[vgprValuC+71], acc188 // copy acc to vreg[47]
v_accvgpr_read_b32 v[vgprValuC+72], acc192 // copy acc to vreg[48]
v_accvgpr_read_b32 v[vgprValuC+73], acc196 // copy acc to vreg[49]
v_accvgpr_read_b32 v[vgprValuC+74], acc200 // copy acc to vreg[50]
v_accvgpr_read_b32 v[vgprValuC+75], acc204 // copy acc to vreg[51]
v_accvgpr_read_b32 v[vgprValuC+76], acc208 // copy acc to vreg[52]
v_accvgpr_read_b32 v[vgprValuC+77], acc212 // copy acc to vreg[53]
v_accvgpr_read_b32 v[vgprValuC+78], acc216 // copy acc to vreg[54]
v_accvgpr_read_b32 v[vgprValuC+79], acc220 // copy acc to vreg[55]
v_accvgpr_read_b32 v[vgprValuC+80], acc224 // copy acc to vreg[56]
v_accvgpr_read_b32 v[vgprValuC+81], acc228 // copy acc to vreg[57]
v_accvgpr_read_b32 v[vgprValuC+82], acc232 // copy acc to vreg[58]
v_accvgpr_read_b32 v[vgprValuC+83], acc236 // copy acc to vreg[59]
v_accvgpr_read_b32 v[vgprValuC+84], acc240 // copy acc to vreg[60]
v_accvgpr_read_b32 v[vgprValuC+85], acc244 // copy acc to vreg[61]
v_accvgpr_read_b32 v[vgprValuC+86], acc248 // copy acc to vreg[62]
v_accvgpr_read_b32 v[vgprValuC+87], acc252 // copy acc to vreg[63]
v_accvgpr_read_b32 v[vgprValuC+88], acc1 // copy acc to vreg[64]
v_accvgpr_read_b32 v[vgprValuC+89], acc5 // copy acc to vreg[65]
v_accvgpr_read_b32 v[vgprValuC+90], acc9 // copy acc to vreg[66]
v_accvgpr_read_b32 v[vgprValuC+91], acc13 // copy acc to vreg[67]
v_accvgpr_read_b32 v[vgprValuC+92], acc17 // copy acc to vreg[68]
v_accvgpr_read_b32 v[vgprValuC+93], acc21 // copy acc to vreg[69]
v_accvgpr_read_b32 v[vgprValuC+94], acc25 // copy acc to vreg[70]
v_accvgpr_read_b32 v[vgprValuC+95], acc29 // copy acc to vreg[71]
v_accvgpr_read_b32 v[vgprValuC+96], acc33 // copy acc to vreg[72]
v_accvgpr_read_b32 v[vgprValuC+97], acc37 // copy acc to vreg[73]
v_accvgpr_read_b32 v[vgprValuC+98], acc41 // copy acc to vreg[74]
v_accvgpr_read_b32 v[vgprValuC+99], acc45 // copy acc to vreg[75]
v_accvgpr_read_b32 v[vgprValuC+100], acc49 // copy acc to vreg[76]
v_accvgpr_read_b32 v[vgprValuC+101], acc53 // copy acc to vreg[77]
v_accvgpr_read_b32 v[vgprValuC+102], acc57 // copy acc to vreg[78]
v_accvgpr_read_b32 v[vgprValuC+103], acc61 // copy acc to vreg[79]
v_accvgpr_read_b32 v[vgprValuC+104], acc65 // copy acc to vreg[80]
v_accvgpr_read_b32 v[vgprValuC+105], acc69 // copy acc to vreg[81]
v_accvgpr_read_b32 v[vgprValuC+106], acc73 // copy acc to vreg[82]
v_accvgpr_read_b32 v[vgprValuC+107], acc77 // copy acc to vreg[83]
v_accvgpr_read_b32 v[vgprValuC+108], acc81 // copy acc to vreg[84]
v_accvgpr_read_b32 v[vgprValuC+109], acc85 // copy acc to vreg[85]
v_accvgpr_read_b32 v[vgprValuC+110], acc89 // copy acc to vreg[86]
v_accvgpr_read_b32 v[vgprValuC+111], acc93 // copy acc to vreg[87]
v_accvgpr_read_b32 v[vgprValuC+112], acc97 // copy acc to vreg[88]
v_accvgpr_read_b32 v[vgprValuC+113], acc101 // copy acc to vreg[89]
v_accvgpr_read_b32 v[vgprValuC+114], acc105 // copy acc to vreg[90]
v_accvgpr_read_b32 v[vgprValuC+115], acc109 // copy acc to vreg[91]
v_accvgpr_read_b32 v[vgprValuC+116], acc113 // copy acc to vreg[92]
v_accvgpr_read_b32 v[vgprValuC+117], acc117 // copy acc to vreg[93]
v_accvgpr_read_b32 v[vgprValuC+118], acc121 // copy acc to vreg[94]
v_accvgpr_read_b32 v[vgprValuC+119], acc125 // copy acc to vreg[95]
v_accvgpr_read_b32 v[vgprValuC+120], acc129 // copy acc to vreg[96]
v_accvgpr_read_b32 v[vgprValuC+121], acc133 // copy acc to vreg[97]
v_accvgpr_read_b32 v[vgprValuC+122], acc137 // copy acc to vreg[98]
v_accvgpr_read_b32 v[vgprValuC+123], acc141 // copy acc to vreg[99]
v_accvgpr_read_b32 v[vgprValuC+124], acc145 // copy acc to vreg[100]
v_accvgpr_read_b32 v[vgprValuC+125], acc149 // copy acc to vreg[101]
v_accvgpr_read_b32 v[vgprValuC+126], acc153 // copy acc to vreg[102]
v_accvgpr_read_b32 v[vgprValuC+127], acc157 // copy acc to vreg[103]
v_accvgpr_read_b32 v[vgprValuC+136], acc161 // copy acc to vreg[104]
v_accvgpr_read_b32 v[vgprValuC+137], acc165 // copy acc to vreg[105]
v_accvgpr_read_b32 v[vgprValuC+138], acc169 // copy acc to vreg[106]
v_accvgpr_read_b32 v[vgprValuC+139], acc173 // copy acc to vreg[107]
v_accvgpr_read_b32 v[vgprValuC+140], acc177 // copy acc to vreg[108]
v_accvgpr_read_b32 v[vgprValuC+141], acc181 // copy acc to vreg[109]
v_accvgpr_read_b32 v[vgprValuC+142], acc185 // copy acc to vreg[110]
v_accvgpr_read_b32 v[vgprValuC+143], acc189 // copy acc to vreg[111]
v_accvgpr_read_b32 v[vgprValuC+144], acc193 // copy acc to vreg[112]
v_accvgpr_read_b32 v[vgprValuC+145], acc197 // copy acc to vreg[113]
v_accvgpr_read_b32 v[vgprValuC+146], acc201 // copy acc to vreg[114]
v_accvgpr_read_b32 v[vgprValuC+147], acc205 // copy acc to vreg[115]
v_accvgpr_read_b32 v[vgprValuC+148], acc209 // copy acc to vreg[116]
v_accvgpr_read_b32 v[vgprValuC+149], acc213 // copy acc to vreg[117]
v_accvgpr_read_b32 v[vgprValuC+150], acc217 // copy acc to vreg[118]
v_accvgpr_read_b32 v[vgprValuC+151], acc221 // copy acc to vreg[119]
v_accvgpr_read_b32 v[vgprValuC+152], acc225 // copy acc to vreg[120]
v_accvgpr_read_b32 v[vgprValuC+153], acc229 // copy acc to vreg[121]
v_accvgpr_read_b32 v[vgprValuC+154], acc233 // copy acc to vreg[122]
v_accvgpr_read_b32 v[vgprValuC+155], acc237 // copy acc to vreg[123]
v_accvgpr_read_b32 v[vgprValuC+156], acc241 // copy acc to vreg[124]
v_accvgpr_read_b32 v[vgprValuC+157], acc245 // copy acc to vreg[125]
v_accvgpr_read_b32 v[vgprValuC+158], acc249 // copy acc to vreg[126]
v_accvgpr_read_b32 v[vgprValuC+159], acc253 // copy acc to vreg[127]
v_accvgpr_read_b32 v[vgprValuC+160], acc2 // copy acc to vreg[128]
v_accvgpr_read_b32 v[vgprValuC+161], acc6 // copy acc to vreg[129]
v_accvgpr_read_b32 v[vgprValuC+162], acc10 // copy acc to vreg[130]
v_accvgpr_read_b32 v[vgprValuC+163], acc14 // copy acc to vreg[131]
v_accvgpr_read_b32 v[vgprValuC+164], acc18 // copy acc to vreg[132]
v_accvgpr_read_b32 v[vgprValuC+165], acc22 // copy acc to vreg[133]
v_accvgpr_read_b32 v[vgprValuC+166], acc26 // copy acc to vreg[134]
v_accvgpr_read_b32 v[vgprValuC+167], acc30 // copy acc to vreg[135]
v_accvgpr_read_b32 v[vgprValuC+168], acc34 // copy acc to vreg[136]
v_accvgpr_read_b32 v[vgprValuC+169], acc38 // copy acc to vreg[137]
v_accvgpr_read_b32 v[vgprValuC+170], acc42 // copy acc to vreg[138]
v_accvgpr_read_b32 v[vgprValuC+171], acc46 // copy acc to vreg[139]
v_accvgpr_read_b32 v[vgprValuC+172], acc50 // copy acc to vreg[140]
v_accvgpr_read_b32 v[vgprValuC+173], acc54 // copy acc to vreg[141]
v_accvgpr_read_b32 v[vgprValuC+174], acc58 // copy acc to vreg[142]
v_accvgpr_read_b32 v[vgprValuC+175], acc62 // copy acc to vreg[143]
v_accvgpr_read_b32 v[vgprValuC+176], acc66 // copy acc to vreg[144]
v_accvgpr_read_b32 v[vgprValuC+177], acc70 // copy acc to vreg[145]
v_accvgpr_read_b32 v[vgprValuC+178], acc74 // copy acc to vreg[146]
v_accvgpr_read_b32 v[vgprValuC+179], acc78 // copy acc to vreg[147]
v_accvgpr_read_b32 v[vgprValuC+180], acc82 // copy acc to vreg[148]
v_accvgpr_read_b32 v[vgprValuC+181], acc86 // copy acc to vreg[149]
v_accvgpr_read_b32 v[vgprValuC+182], acc90 // copy acc to vreg[150]
v_accvgpr_read_b32 v[vgprValuC+183], acc94 // copy acc to vreg[151]
v_accvgpr_read_b32 v[vgprValuC+184], acc98 // copy acc to vreg[152]
v_accvgpr_read_b32 v[vgprValuC+185], acc102 // copy acc to vreg[153]
v_accvgpr_read_b32 v[vgprValuC+186], acc106 // copy acc to vreg[154]
v_accvgpr_read_b32 v[vgprValuC+187], acc110 // copy acc to vreg[155]
v_accvgpr_read_b32 v[vgprValuC+188], acc114 // copy acc to vreg[156]
v_accvgpr_read_b32 v[vgprValuC+189], acc118 // copy acc to vreg[157]
v_accvgpr_read_b32 v[vgprValuC+190], acc122 // copy acc to vreg[158]
v_accvgpr_read_b32 v[vgprValuC+191], acc126 // copy acc to vreg[159]
v_accvgpr_read_b32 v[vgprValuC+192], acc130 // copy acc to vreg[160]
v_accvgpr_read_b32 v[vgprValuC+193], acc134 // copy acc to vreg[161]
v_accvgpr_read_b32 v[vgprValuC+194], acc138 // copy acc to vreg[162]
v_accvgpr_read_b32 v[vgprValuC+195], acc142 // copy acc to vreg[163]
v_accvgpr_read_b32 v[vgprValuC+196], acc146 // copy acc to vreg[164]
v_accvgpr_read_b32 v[vgprValuC+197], acc150 // copy acc to vreg[165]
v_accvgpr_read_b32 v[vgprValuC+198], acc154 // copy acc to vreg[166]
v_accvgpr_read_b32 v[vgprValuC+199], acc158 // copy acc to vreg[167]
v_accvgpr_read_b32 v[vgprValuC+208], acc162 // copy acc to vreg[168]
v_accvgpr_read_b32 v[vgprValuC+209], acc166 // copy acc to vreg[169]
v_accvgpr_read_b32 v[vgprValuC+210], acc170 // copy acc to vreg[170]
v_accvgpr_read_b32 v[vgprValuC+211], acc174 // copy acc to vreg[171]
v_accvgpr_read_b32 v[vgprValuC+212], acc178 // copy acc to vreg[172]
v_accvgpr_read_b32 v[vgprValuC+213], acc182 // copy acc to vreg[173]
v_accvgpr_read_b32 v[vgprValuC+214], acc186 // copy acc to vreg[174]
v_accvgpr_read_b32 v[vgprValuC+215], acc190 // copy acc to vreg[175]
v_accvgpr_read_b32 v[vgprValuC+216], acc194 // copy acc to vreg[176]
v_accvgpr_read_b32 v[vgprValuC+217], acc198 // copy acc to vreg[177]
v_accvgpr_read_b32 v[vgprValuC+218], acc202 // copy acc to vreg[178]
v_accvgpr_read_b32 v[vgprValuC+219], acc206 // copy acc to vreg[179]
v_accvgpr_read_b32 v[vgprValuC+220], acc210 // copy acc to vreg[180]
v_accvgpr_read_b32 v[vgprValuC+221], acc214 // copy acc to vreg[181]
v_accvgpr_read_b32 v[vgprValuC+222], acc218 // copy acc to vreg[182]
v_accvgpr_read_b32 v[vgprValuC+223], acc222 // copy acc to vreg[183]
v_accvgpr_read_b32 v[vgprValuC+232], acc226 // copy acc to vreg[184]
v_accvgpr_read_b32 v[vgprValuC+233], acc230 // copy acc to vreg[185]
v_accvgpr_read_b32 v[vgprValuC+234], acc234 // copy acc to vreg[186]
v_accvgpr_read_b32 v[vgprValuC+235], acc238 // copy acc to vreg[187]
v_accvgpr_read_b32 v[vgprValuC+236], acc242 // copy acc to vreg[188]
v_accvgpr_read_b32 v[vgprValuC+237], acc246 // copy acc to vreg[189]
v_accvgpr_read_b32 v[vgprValuC+238], acc250 // copy acc to vreg[190]
v_accvgpr_read_b32 v[vgprValuC+239], acc254 // copy acc to vreg[191]
v_accvgpr_read_b32 v[vgprValuC+240], acc3 // copy acc to vreg[192]
v_accvgpr_read_b32 v[vgprValuC+241], acc7 // copy acc to vreg[193]
v_accvgpr_read_b32 v[vgprValuC+242], acc11 // copy acc to vreg[194]
v_accvgpr_read_b32 v[vgprValuC+243], acc15 // copy acc to vreg[195]
v_accvgpr_read_b32 v[vgprValuC+244], acc19 // copy acc to vreg[196]
v_accvgpr_read_b32 v[vgprValuC+245], acc23 // copy acc to vreg[197]
v_accvgpr_read_b32 v[vgprValuC+246], acc27 // copy acc to vreg[198]
v_accvgpr_read_b32 v[vgprValuC+247], acc31 // copy acc to vreg[199]
s_nop 1                                            // 2 wait states required before reading vgpr

/* rC *= alpha batchElements=[(0, 0, 0, 0), (0, 0, 1, 0), (0, 0, 2, 0), (0, 0, 3, 0), (0, 0, 4, 0), (0, 0, 5, 0), (0, 0, 6, 0), (0, 0, 7, 0), (0, 0, 8, 0), (0, 0, 9, 0), (0, 0, 10, 0), (0, 0, 11, 0), (0, 0, 12, 0), (0, 0, 13, 0), (0, 0, 14, 0), (0, 0, 15, 0), (0, 0, 16, 0), (0, 0, 17, 0), (0, 0, 18, 0), (0, 0, 19, 0), (0, 0, 20, 0), (0, 0, 21, 0), (0, 0, 22, 0), (0, 0, 23, 0), (0, 0, 24, 0)] */
v_mul_f32 v[vgprValuC+16], s[sgprAlpha], v[vgprValuC+16] // *= alpha
v_mul_f32 v[vgprValuC+17], s[sgprAlpha], v[vgprValuC+17] // *= alpha
	;; [unrolled: 1-line block ×200, first 2 shown]

/* apply mask, calc new C and issue writes */
v_mov_b32 v10, 0x207                               // flag for Nan and +/- inf
v_mov_b32 v8, 0x47600000                           // save 57344.0f as max for clipping
v_mov_b32 v9, 0xC7600000                           // save -57344`.0f as min for clipping
v_cmp_class_f32 s[52:53], v[vgprValuC+16], v10     // check NaN and +/-INF
v_med3_f32 v6, v[vgprValuC+16], v8, v9             // Clipping f32 value if exceeds the limit
v_cndmask_b32 v6, v6, v[vgprValuC+16], s[52:53]    // 
v_cmp_class_f32 s[52:53], v[vgprValuC+17], v10     // check NaN and +/-INF
v_med3_f32 v7, v[vgprValuC+17], v8, v9             // Clipping f32 value if exceeds the limit
v_cndmask_b32 v7, v7, v[vgprValuC+17], s[52:53]    // 
v_cvt_pk_bf8_f32  v16, v6, v7 op_sel:[0,0,0]       // convert two f32 accumulated values to fp8 and save it to lo_16[0:15]
v_cmp_class_f32 s[52:53], v[vgprValuC+18], v10     // check NaN and +/-INF
v_med3_f32 v6, v[vgprValuC+18], v8, v9             // Clipping f32 value if exceeds the limit
v_cndmask_b32 v6, v6, v[vgprValuC+18], s[52:53]    // 
v_cmp_class_f32 s[52:53], v[vgprValuC+19], v10     // check NaN and +/-INF
v_med3_f32 v7, v[vgprValuC+19], v8, v9             // Clipping f32 value if exceeds the limit
v_cndmask_b32 v7, v7, v[vgprValuC+19], s[52:53]    // 
v_cvt_pk_bf8_f32  v16, v6, v7 op_sel:[0,0,1]       // convert two f32 accumulated values to fp8 and save it to hi_16[16:31]
v_cmp_class_f32 s[52:53], v[vgprValuC+20], v10     // check NaN and +/-INF
v_med3_f32 v6, v[vgprValuC+20], v8, v9             // Clipping f32 value if exceeds the limit
v_cndmask_b32 v6, v6, v[vgprValuC+20], s[52:53]    // 
v_cmp_class_f32 s[52:53], v[vgprValuC+21], v10     // check NaN and +/-INF
v_med3_f32 v7, v[vgprValuC+21], v8, v9             // Clipping f32 value if exceeds the limit
v_cndmask_b32 v7, v7, v[vgprValuC+21], s[52:53]    // 
v_cvt_pk_bf8_f32  v17, v6, v7 op_sel:[0,0,0]       // convert two f32 accumulated values to fp8 and save it to lo_16[0:15]
v_cmp_class_f32 s[52:53], v[vgprValuC+22], v10     // check NaN and +/-INF
v_med3_f32 v6, v[vgprValuC+22], v8, v9             // Clipping f32 value if exceeds the limit
v_cndmask_b32 v6, v6, v[vgprValuC+22], s[52:53]    // 
v_cmp_class_f32 s[52:53], v[vgprValuC+23], v10     // check NaN and +/-INF
v_med3_f32 v7, v[vgprValuC+23], v8, v9             // Clipping f32 value if exceeds the limit
v_cndmask_b32 v7, v7, v[vgprValuC+23], s[52:53]    // 
v_cvt_pk_bf8_f32  v17, v6, v7 op_sel:[0,0,1]       // convert two f32 accumulated values to fp8 and save it to hi_16[16:31]
_buffer_store_b64 v[16:17], v11, s[sgprSrdD:sgprSrdD+3], 0, offen, offset:0,  sc0 sc1 // store D
v_cmp_class_f32 s[52:53], v[vgprValuC+24], v10     // check NaN and +/-INF
v_med3_f32 v6, v[vgprValuC+24], v8, v9             // Clipping f32 value if exceeds the limit
v_cndmask_b32 v6, v6, v[vgprValuC+24], s[52:53]    // 
v_cmp_class_f32 s[52:53], v[vgprValuC+25], v10     // check NaN and +/-INF
v_med3_f32 v7, v[vgprValuC+25], v8, v9             // Clipping f32 value if exceeds the limit
v_cndmask_b32 v7, v7, v[vgprValuC+25], s[52:53]    // 
v_cvt_pk_bf8_f32  v24, v6, v7 op_sel:[0,0,0]       // convert two f32 accumulated values to fp8 and save it to lo_16[0:15]
v_cmp_class_f32 s[52:53], v[vgprValuC+26], v10     // check NaN and +/-INF
v_med3_f32 v6, v[vgprValuC+26], v8, v9             // Clipping f32 value if exceeds the limit
v_cndmask_b32 v6, v6, v[vgprValuC+26], s[52:53]    // 
v_cmp_class_f32 s[52:53], v[vgprValuC+27], v10     // check NaN and +/-INF
v_med3_f32 v7, v[vgprValuC+27], v8, v9             // Clipping f32 value if exceeds the limit
v_cndmask_b32 v7, v7, v[vgprValuC+27], s[52:53]    // 
v_cvt_pk_bf8_f32  v24, v6, v7 op_sel:[0,0,1]       // convert two f32 accumulated values to fp8 and save it to hi_16[16:31]
v_cmp_class_f32 s[52:53], v[vgprValuC+28], v10     // check NaN and +/-INF
v_med3_f32 v6, v[vgprValuC+28], v8, v9             // Clipping f32 value if exceeds the limit
v_cndmask_b32 v6, v6, v[vgprValuC+28], s[52:53]    // 
v_cmp_class_f32 s[52:53], v[vgprValuC+29], v10     // check NaN and +/-INF
v_med3_f32 v7, v[vgprValuC+29], v8, v9             // Clipping f32 value if exceeds the limit
v_cndmask_b32 v7, v7, v[vgprValuC+29], s[52:53]    // 
v_cvt_pk_bf8_f32  v25, v6, v7 op_sel:[0,0,0]       // convert two f32 accumulated values to fp8 and save it to lo_16[0:15]
v_cmp_class_f32 s[52:53], v[vgprValuC+30], v10     // check NaN and +/-INF
v_med3_f32 v6, v[vgprValuC+30], v8, v9             // Clipping f32 value if exceeds the limit
v_cndmask_b32 v6, v6, v[vgprValuC+30], s[52:53]    // 
v_cmp_class_f32 s[52:53], v[vgprValuC+31], v10     // check NaN and +/-INF
v_med3_f32 v7, v[vgprValuC+31], v8, v9             // Clipping f32 value if exceeds the limit
v_cndmask_b32 v7, v7, v[vgprValuC+31], s[52:53]    // 
v_cvt_pk_bf8_f32  v25, v6, v7 op_sel:[0,0,1]       // convert two f32 accumulated values to fp8 and save it to hi_16[16:31]
_buffer_store_b64 v[24:25], v12, s[sgprSrdD:sgprSrdD+3], 0, offen, offset:0,  sc0 sc1 // store D
	;; [unrolled: 29-line block ×9, first 2 shown]
v_cmp_class_f32 s[52:53], v[vgprValuC+96], v10     // check NaN and +/-INF
v_med3_f32 v6, v[vgprValuC+96], v8, v9             // Clipping f32 value if exceeds the limit
v_cndmask_b32 v6, v6, v[vgprValuC+96], s[52:53]    // 
v_cmp_class_f32 s[52:53], v[vgprValuC+97], v10     // check NaN and +/-INF
v_med3_f32 v7, v[vgprValuC+97], v8, v9             // Clipping f32 value if exceeds the limit
v_cndmask_b32 v7, v7, v[vgprValuC+97], s[52:53]    // 
v_cvt_pk_bf8_f32  v96, v6, v7 op_sel:[0,0,0]       // convert two f32 accumulated values to fp8 and save it to lo_16[0:15]
v_cmp_class_f32 s[52:53], v[vgprValuC+98], v10     // check NaN and +/-INF
v_med3_f32 v6, v[vgprValuC+98], v8, v9             // Clipping f32 value if exceeds the limit
v_cndmask_b32 v6, v6, v[vgprValuC+98], s[52:53]    // 
v_cmp_class_f32 s[52:53], v[vgprValuC+99], v10     // check NaN and +/-INF
v_med3_f32 v7, v[vgprValuC+99], v8, v9             // Clipping f32 value if exceeds the limit
v_cndmask_b32 v7, v7, v[vgprValuC+99], s[52:53]    // 
v_cvt_pk_bf8_f32  v96, v6, v7 op_sel:[0,0,1]       // convert two f32 accumulated values to fp8 and save it to hi_16[16:31]
v_cmp_class_f32 s[52:53], v[vgprValuC+100], v10    // check NaN and +/-INF
v_med3_f32 v6, v[vgprValuC+100], v8, v9            // Clipping f32 value if exceeds the limit
v_cndmask_b32 v6, v6, v[vgprValuC+100], s[52:53]   // 
v_cmp_class_f32 s[52:53], v[vgprValuC+101], v10    // check NaN and +/-INF
v_med3_f32 v7, v[vgprValuC+101], v8, v9            // Clipping f32 value if exceeds the limit
v_cndmask_b32 v7, v7, v[vgprValuC+101], s[52:53]   // 
v_cvt_pk_bf8_f32  v97, v6, v7 op_sel:[0,0,0]       // convert two f32 accumulated values to fp8 and save it to lo_16[0:15]
v_cmp_class_f32 s[52:53], v[vgprValuC+102], v10    // check NaN and +/-INF
v_med3_f32 v6, v[vgprValuC+102], v8, v9            // Clipping f32 value if exceeds the limit
v_cndmask_b32 v6, v6, v[vgprValuC+102], s[52:53]   // 
v_cmp_class_f32 s[52:53], v[vgprValuC+103], v10    // check NaN and +/-INF
v_med3_f32 v7, v[vgprValuC+103], v8, v9            // Clipping f32 value if exceeds the limit
v_cndmask_b32 v7, v7, v[vgprValuC+103], s[52:53]   // 
v_cvt_pk_bf8_f32  v97, v6, v7 op_sel:[0,0,1]       // convert two f32 accumulated values to fp8 and save it to hi_16[16:31]
_buffer_store_b64 v[96:97], v60, s[sgprSrdD:sgprSrdD+3], 0, offen, offset:0,  sc0 sc1 // store D
v_cmp_class_f32 s[52:53], v[vgprValuC+104], v10    // check NaN and +/-INF
v_med3_f32 v6, v[vgprValuC+104], v8, v9            // Clipping f32 value if exceeds the limit
v_cndmask_b32 v6, v6, v[vgprValuC+104], s[52:53]   // 
v_cmp_class_f32 s[52:53], v[vgprValuC+105], v10    // check NaN and +/-INF
v_med3_f32 v7, v[vgprValuC+105], v8, v9            // Clipping f32 value if exceeds the limit
v_cndmask_b32 v7, v7, v[vgprValuC+105], s[52:53]   // 
v_cvt_pk_bf8_f32  v104, v6, v7 op_sel:[0,0,0]      // convert two f32 accumulated values to fp8 and save it to lo_16[0:15]
v_cmp_class_f32 s[52:53], v[vgprValuC+106], v10    // check NaN and +/-INF
v_med3_f32 v6, v[vgprValuC+106], v8, v9            // Clipping f32 value if exceeds the limit
v_cndmask_b32 v6, v6, v[vgprValuC+106], s[52:53]   // 
v_cmp_class_f32 s[52:53], v[vgprValuC+107], v10    // check NaN and +/-INF
v_med3_f32 v7, v[vgprValuC+107], v8, v9            // Clipping f32 value if exceeds the limit
v_cndmask_b32 v7, v7, v[vgprValuC+107], s[52:53]   // 
v_cvt_pk_bf8_f32  v104, v6, v7 op_sel:[0,0,1]      // convert two f32 accumulated values to fp8 and save it to hi_16[16:31]
v_cmp_class_f32 s[52:53], v[vgprValuC+108], v10    // check NaN and +/-INF
v_med3_f32 v6, v[vgprValuC+108], v8, v9            // Clipping f32 value if exceeds the limit
v_cndmask_b32 v6, v6, v[vgprValuC+108], s[52:53]   // 
v_cmp_class_f32 s[52:53], v[vgprValuC+109], v10    // check NaN and +/-INF
v_med3_f32 v7, v[vgprValuC+109], v8, v9            // Clipping f32 value if exceeds the limit
v_cndmask_b32 v7, v7, v[vgprValuC+109], s[52:53]   // 
v_cvt_pk_bf8_f32  v105, v6, v7 op_sel:[0,0,0]      // convert two f32 accumulated values to fp8 and save it to lo_16[0:15]
v_cmp_class_f32 s[52:53], v[vgprValuC+110], v10    // check NaN and +/-INF
v_med3_f32 v6, v[vgprValuC+110], v8, v9            // Clipping f32 value if exceeds the limit
v_cndmask_b32 v6, v6, v[vgprValuC+110], s[52:53]   // 
v_cmp_class_f32 s[52:53], v[vgprValuC+111], v10    // check NaN and +/-INF
v_med3_f32 v7, v[vgprValuC+111], v8, v9            // Clipping f32 value if exceeds the limit
v_cndmask_b32 v7, v7, v[vgprValuC+111], s[52:53]   // 
v_cvt_pk_bf8_f32  v105, v6, v7 op_sel:[0,0,1]      // convert two f32 accumulated values to fp8 and save it to hi_16[16:31]
_buffer_store_b64 v[104:105], v61, s[sgprSrdD:sgprSrdD+3], 0, offen, offset:0,  sc0 sc1 // store D
v_cmp_class_f32 s[52:53], v[vgprValuC+112], v10    // check NaN and +/-INF
v_med3_f32 v6, v[vgprValuC+112], v8, v9            // Clipping f32 value if exceeds the limit
v_cndmask_b32 v6, v6, v[vgprValuC+112], s[52:53]   // 
v_cmp_class_f32 s[52:53], v[vgprValuC+113], v10    // check NaN and +/-INF
v_med3_f32 v7, v[vgprValuC+113], v8, v9            // Clipping f32 value if exceeds the limit
v_cndmask_b32 v7, v7, v[vgprValuC+113], s[52:53]   // 
v_cvt_pk_bf8_f32  v112, v6, v7 op_sel:[0,0,0]      // convert two f32 accumulated values to fp8 and save it to lo_16[0:15]
v_cmp_class_f32 s[52:53], v[vgprValuC+114], v10    // check NaN and +/-INF
v_med3_f32 v6, v[vgprValuC+114], v8, v9            // Clipping f32 value if exceeds the limit
v_cndmask_b32 v6, v6, v[vgprValuC+114], s[52:53]   // 
v_cmp_class_f32 s[52:53], v[vgprValuC+115], v10    // check NaN and +/-INF
v_med3_f32 v7, v[vgprValuC+115], v8, v9            // Clipping f32 value if exceeds the limit
v_cndmask_b32 v7, v7, v[vgprValuC+115], s[52:53]   // 
v_cvt_pk_bf8_f32  v112, v6, v7 op_sel:[0,0,1]      // convert two f32 accumulated values to fp8 and save it to hi_16[16:31]
v_cmp_class_f32 s[52:53], v[vgprValuC+116], v10    // check NaN and +/-INF
v_med3_f32 v6, v[vgprValuC+116], v8, v9            // Clipping f32 value if exceeds the limit
v_cndmask_b32 v6, v6, v[vgprValuC+116], s[52:53]   // 
v_cmp_class_f32 s[52:53], v[vgprValuC+117], v10    // check NaN and +/-INF
v_med3_f32 v7, v[vgprValuC+117], v8, v9            // Clipping f32 value if exceeds the limit
v_cndmask_b32 v7, v7, v[vgprValuC+117], s[52:53]   // 
v_cvt_pk_bf8_f32  v113, v6, v7 op_sel:[0,0,0]      // convert two f32 accumulated values to fp8 and save it to lo_16[0:15]
v_cmp_class_f32 s[52:53], v[vgprValuC+118], v10    // check NaN and +/-INF
v_med3_f32 v6, v[vgprValuC+118], v8, v9            // Clipping f32 value if exceeds the limit
v_cndmask_b32 v6, v6, v[vgprValuC+118], s[52:53]   // 
v_cmp_class_f32 s[52:53], v[vgprValuC+119], v10    // check NaN and +/-INF
v_med3_f32 v7, v[vgprValuC+119], v8, v9            // Clipping f32 value if exceeds the limit
v_cndmask_b32 v7, v7, v[vgprValuC+119], s[52:53]   // 
v_cvt_pk_bf8_f32  v113, v6, v7 op_sel:[0,0,1]      // convert two f32 accumulated values to fp8 and save it to hi_16[16:31]
	;; [unrolled: 29-line block ×15, first 2 shown]
_buffer_store_b64 v[240:241], v203, s[sgprSrdD:sgprSrdD+3], 0, offen, offset:0,  sc0 sc1 // store D
s_nop 0                                            // 1 wait state required when next inst writes vgprs held by previous dwordx4 store inst
/* optSingleColVgpr=0 optSharedColVgpr=0 optSGPRUsage=BufferLoad_Edge_Mask optSrdIncForRow=0 */

/******************************************/
/* Global Write Alpha Edge Batch #1 (d1,d0,vc1,vc0) = */
/*    (0,0,25,0:vw8); (0,0,26,0:vw8); (0,0,27,0:vw8); (0,0,28,0:vw8); (0,0,29,0:vw8); (0,0,30,0:vw8); (0,0,31,0:vw8) */
/******************************************/

/* calc coords, apply mask, and issue loads (if necessary) */
/* (d1,vc1,d0,vc0)=(0,25,0,0) */
_v_add_co_u32 v1, vcc, v1, 1                       // coord1.1: coord1Vgpr += d1*sg1*VW + vc1

/* Fix for UseInitialStridesCD, emitAddressSetupCode */
_v_add_u32 v2, v2, s[sgprStrideC1J]                // ROWINC- Move cinRowPtr to next row
_v_add_u32 v3, v3, s[sgprStrideD1J]                // Move coutRowPtr to next row
v_cmp_lt_u32 s[52:53], v0, s[sgprSizeI]            // coord0 < size0
v_cmp_lt_u32 s[56:57], v1, s[sgprSizeJ]            // coord1 < size1
s_and_b64 s[56:57], s[52:53], s[56:57]             // in0 && in1
_v_add_lshl_u32 v11, v3, v0, 0x0                   // scaleToBpe: accumulate d0 lower and *= bpe into Cin addr
v_cndmask_b32 v11, -1, v11, s[56:57]               // LDD clip if OOB. offset
/* (d1,vc1,d0,vc0)=(0,26,0,0) */
_v_add_co_u32 v1, vcc, v1, 1                       // coord1.1: coord1Vgpr += d1*sg1*VW + vc1

/* Fix for UseInitialStridesCD, emitAddressSetupCode */
_v_add_u32 v2, v2, s[sgprStrideC1J]                // ROWINC- Move cinRowPtr to next row
_v_add_u32 v3, v3, s[sgprStrideD1J]                // Move coutRowPtr to next row
v_cmp_lt_u32 s[52:53], v0, s[sgprSizeI]            // coord0 < size0
v_cmp_lt_u32 s[56:57], v1, s[sgprSizeJ]            // coord1 < size1
s_and_b64 s[56:57], s[52:53], s[56:57]             // in0 && in1
_v_add_lshl_u32 v12, v3, v0, 0x0                   // scaleToBpe: accumulate d0 lower and *= bpe into Cin addr
v_cndmask_b32 v12, -1, v12, s[56:57]               // LDD clip if OOB. offset
	;; [unrolled: 11-line block ×7, first 2 shown]
v_accvgpr_read_b32 v[vgprValuC+16], acc35 // copy acc to vreg[200]
v_accvgpr_read_b32 v[vgprValuC+17], acc39 // copy acc to vreg[201]
v_accvgpr_read_b32 v[vgprValuC+18], acc43 // copy acc to vreg[202]
v_accvgpr_read_b32 v[vgprValuC+19], acc47 // copy acc to vreg[203]
v_accvgpr_read_b32 v[vgprValuC+20], acc51 // copy acc to vreg[204]
v_accvgpr_read_b32 v[vgprValuC+21], acc55 // copy acc to vreg[205]
v_accvgpr_read_b32 v[vgprValuC+22], acc59 // copy acc to vreg[206]
v_accvgpr_read_b32 v[vgprValuC+23], acc63 // copy acc to vreg[207]
v_accvgpr_read_b32 v[vgprValuC+24], acc67 // copy acc to vreg[208]
v_accvgpr_read_b32 v[vgprValuC+25], acc71 // copy acc to vreg[209]
v_accvgpr_read_b32 v[vgprValuC+26], acc75 // copy acc to vreg[210]
v_accvgpr_read_b32 v[vgprValuC+27], acc79 // copy acc to vreg[211]
v_accvgpr_read_b32 v[vgprValuC+28], acc83 // copy acc to vreg[212]
v_accvgpr_read_b32 v[vgprValuC+29], acc87 // copy acc to vreg[213]
v_accvgpr_read_b32 v[vgprValuC+30], acc91 // copy acc to vreg[214]
v_accvgpr_read_b32 v[vgprValuC+31], acc95 // copy acc to vreg[215]
v_accvgpr_read_b32 v[vgprValuC+32], acc99 // copy acc to vreg[216]
v_accvgpr_read_b32 v[vgprValuC+33], acc103 // copy acc to vreg[217]
v_accvgpr_read_b32 v[vgprValuC+34], acc107 // copy acc to vreg[218]
v_accvgpr_read_b32 v[vgprValuC+35], acc111 // copy acc to vreg[219]
v_accvgpr_read_b32 v[vgprValuC+36], acc115 // copy acc to vreg[220]
v_accvgpr_read_b32 v[vgprValuC+37], acc119 // copy acc to vreg[221]
v_accvgpr_read_b32 v[vgprValuC+38], acc123 // copy acc to vreg[222]
v_accvgpr_read_b32 v[vgprValuC+39], acc127 // copy acc to vreg[223]
v_accvgpr_read_b32 v[vgprValuC+40], acc131 // copy acc to vreg[224]
v_accvgpr_read_b32 v[vgprValuC+41], acc135 // copy acc to vreg[225]
v_accvgpr_read_b32 v[vgprValuC+42], acc139 // copy acc to vreg[226]
v_accvgpr_read_b32 v[vgprValuC+43], acc143 // copy acc to vreg[227]
v_accvgpr_read_b32 v[vgprValuC+44], acc147 // copy acc to vreg[228]
v_accvgpr_read_b32 v[vgprValuC+45], acc151 // copy acc to vreg[229]
v_accvgpr_read_b32 v[vgprValuC+46], acc155 // copy acc to vreg[230]
v_accvgpr_read_b32 v[vgprValuC+47], acc159 // copy acc to vreg[231]
v_accvgpr_read_b32 v[vgprValuC+48], acc163 // copy acc to vreg[232]
v_accvgpr_read_b32 v[vgprValuC+49], acc167 // copy acc to vreg[233]
v_accvgpr_read_b32 v[vgprValuC+50], acc171 // copy acc to vreg[234]
v_accvgpr_read_b32 v[vgprValuC+51], acc175 // copy acc to vreg[235]
v_accvgpr_read_b32 v[vgprValuC+52], acc179 // copy acc to vreg[236]
v_accvgpr_read_b32 v[vgprValuC+53], acc183 // copy acc to vreg[237]
v_accvgpr_read_b32 v[vgprValuC+54], acc187 // copy acc to vreg[238]
v_accvgpr_read_b32 v[vgprValuC+55], acc191 // copy acc to vreg[239]
v_accvgpr_read_b32 v[vgprValuC+64], acc195 // copy acc to vreg[240]
v_accvgpr_read_b32 v[vgprValuC+65], acc199 // copy acc to vreg[241]
v_accvgpr_read_b32 v[vgprValuC+66], acc203 // copy acc to vreg[242]
v_accvgpr_read_b32 v[vgprValuC+67], acc207 // copy acc to vreg[243]
v_accvgpr_read_b32 v[vgprValuC+68], acc211 // copy acc to vreg[244]
v_accvgpr_read_b32 v[vgprValuC+69], acc215 // copy acc to vreg[245]
v_accvgpr_read_b32 v[vgprValuC+70], acc219 // copy acc to vreg[246]
v_accvgpr_read_b32 v[vgprValuC+71], acc223 // copy acc to vreg[247]
v_accvgpr_read_b32 v[vgprValuC+72], acc227 // copy acc to vreg[248]
v_accvgpr_read_b32 v[vgprValuC+73], acc231 // copy acc to vreg[249]
v_accvgpr_read_b32 v[vgprValuC+74], acc235 // copy acc to vreg[250]
v_accvgpr_read_b32 v[vgprValuC+75], acc239 // copy acc to vreg[251]
v_accvgpr_read_b32 v[vgprValuC+76], acc243 // copy acc to vreg[252]
v_accvgpr_read_b32 v[vgprValuC+77], acc247 // copy acc to vreg[253]
v_accvgpr_read_b32 v[vgprValuC+78], acc251 // copy acc to vreg[254]
v_accvgpr_read_b32 v[vgprValuC+79], acc255 // copy acc to vreg[255]
s_nop 1                                            // 2 wait states required before reading vgpr

/* rC *= alpha batchElements=[(0, 0, 25, 0), (0, 0, 26, 0), (0, 0, 27, 0), (0, 0, 28, 0), (0, 0, 29, 0), (0, 0, 30, 0), (0, 0, 31, 0)] */
v_mul_f32 v[vgprValuC+16], s[sgprAlpha], v[vgprValuC+16] // *= alpha
v_mul_f32 v[vgprValuC+17], s[sgprAlpha], v[vgprValuC+17] // *= alpha
	;; [unrolled: 1-line block ×56, first 2 shown]

/* apply mask, calc new C and issue writes */
v_mov_b32 v10, 0x207                               // flag for Nan and +/- inf
v_mov_b32 v8, 0x47600000                           // save 57344.0f as max for clipping
v_mov_b32 v9, 0xC7600000                           // save -57344`.0f as min for clipping
v_cmp_class_f32 s[52:53], v[vgprValuC+16], v10     // check NaN and +/-INF
v_med3_f32 v6, v[vgprValuC+16], v8, v9             // Clipping f32 value if exceeds the limit
v_cndmask_b32 v6, v6, v[vgprValuC+16], s[52:53]    // 
v_cmp_class_f32 s[52:53], v[vgprValuC+17], v10     // check NaN and +/-INF
v_med3_f32 v7, v[vgprValuC+17], v8, v9             // Clipping f32 value if exceeds the limit
v_cndmask_b32 v7, v7, v[vgprValuC+17], s[52:53]    // 
v_cvt_pk_bf8_f32  v16, v6, v7 op_sel:[0,0,0]       // convert two f32 accumulated values to fp8 and save it to lo_16[0:15]
v_cmp_class_f32 s[52:53], v[vgprValuC+18], v10     // check NaN and +/-INF
v_med3_f32 v6, v[vgprValuC+18], v8, v9             // Clipping f32 value if exceeds the limit
v_cndmask_b32 v6, v6, v[vgprValuC+18], s[52:53]    // 
v_cmp_class_f32 s[52:53], v[vgprValuC+19], v10     // check NaN and +/-INF
v_med3_f32 v7, v[vgprValuC+19], v8, v9             // Clipping f32 value if exceeds the limit
v_cndmask_b32 v7, v7, v[vgprValuC+19], s[52:53]    // 
v_cvt_pk_bf8_f32  v16, v6, v7 op_sel:[0,0,1]       // convert two f32 accumulated values to fp8 and save it to hi_16[16:31]
v_cmp_class_f32 s[52:53], v[vgprValuC+20], v10     // check NaN and +/-INF
v_med3_f32 v6, v[vgprValuC+20], v8, v9             // Clipping f32 value if exceeds the limit
v_cndmask_b32 v6, v6, v[vgprValuC+20], s[52:53]    // 
v_cmp_class_f32 s[52:53], v[vgprValuC+21], v10     // check NaN and +/-INF
v_med3_f32 v7, v[vgprValuC+21], v8, v9             // Clipping f32 value if exceeds the limit
v_cndmask_b32 v7, v7, v[vgprValuC+21], s[52:53]    // 
v_cvt_pk_bf8_f32  v17, v6, v7 op_sel:[0,0,0]       // convert two f32 accumulated values to fp8 and save it to lo_16[0:15]
v_cmp_class_f32 s[52:53], v[vgprValuC+22], v10     // check NaN and +/-INF
v_med3_f32 v6, v[vgprValuC+22], v8, v9             // Clipping f32 value if exceeds the limit
v_cndmask_b32 v6, v6, v[vgprValuC+22], s[52:53]    // 
v_cmp_class_f32 s[52:53], v[vgprValuC+23], v10     // check NaN and +/-INF
v_med3_f32 v7, v[vgprValuC+23], v8, v9             // Clipping f32 value if exceeds the limit
v_cndmask_b32 v7, v7, v[vgprValuC+23], s[52:53]    // 
v_cvt_pk_bf8_f32  v17, v6, v7 op_sel:[0,0,1]       // convert two f32 accumulated values to fp8 and save it to hi_16[16:31]
_buffer_store_b64 v[16:17], v11, s[sgprSrdD:sgprSrdD+3], 0, offen, offset:0,  sc0 sc1 // store D
v_cmp_class_f32 s[52:53], v[vgprValuC+24], v10     // check NaN and +/-INF
v_med3_f32 v6, v[vgprValuC+24], v8, v9             // Clipping f32 value if exceeds the limit
v_cndmask_b32 v6, v6, v[vgprValuC+24], s[52:53]    // 
v_cmp_class_f32 s[52:53], v[vgprValuC+25], v10     // check NaN and +/-INF
v_med3_f32 v7, v[vgprValuC+25], v8, v9             // Clipping f32 value if exceeds the limit
v_cndmask_b32 v7, v7, v[vgprValuC+25], s[52:53]    // 
v_cvt_pk_bf8_f32  v24, v6, v7 op_sel:[0,0,0]       // convert two f32 accumulated values to fp8 and save it to lo_16[0:15]
v_cmp_class_f32 s[52:53], v[vgprValuC+26], v10     // check NaN and +/-INF
v_med3_f32 v6, v[vgprValuC+26], v8, v9             // Clipping f32 value if exceeds the limit
v_cndmask_b32 v6, v6, v[vgprValuC+26], s[52:53]    // 
v_cmp_class_f32 s[52:53], v[vgprValuC+27], v10     // check NaN and +/-INF
v_med3_f32 v7, v[vgprValuC+27], v8, v9             // Clipping f32 value if exceeds the limit
v_cndmask_b32 v7, v7, v[vgprValuC+27], s[52:53]    // 
v_cvt_pk_bf8_f32  v24, v6, v7 op_sel:[0,0,1]       // convert two f32 accumulated values to fp8 and save it to hi_16[16:31]
v_cmp_class_f32 s[52:53], v[vgprValuC+28], v10     // check NaN and +/-INF
v_med3_f32 v6, v[vgprValuC+28], v8, v9             // Clipping f32 value if exceeds the limit
v_cndmask_b32 v6, v6, v[vgprValuC+28], s[52:53]    // 
v_cmp_class_f32 s[52:53], v[vgprValuC+29], v10     // check NaN and +/-INF
v_med3_f32 v7, v[vgprValuC+29], v8, v9             // Clipping f32 value if exceeds the limit
v_cndmask_b32 v7, v7, v[vgprValuC+29], s[52:53]    // 
v_cvt_pk_bf8_f32  v25, v6, v7 op_sel:[0,0,0]       // convert two f32 accumulated values to fp8 and save it to lo_16[0:15]
v_cmp_class_f32 s[52:53], v[vgprValuC+30], v10     // check NaN and +/-INF
v_med3_f32 v6, v[vgprValuC+30], v8, v9             // Clipping f32 value if exceeds the limit
v_cndmask_b32 v6, v6, v[vgprValuC+30], s[52:53]    // 
v_cmp_class_f32 s[52:53], v[vgprValuC+31], v10     // check NaN and +/-INF
v_med3_f32 v7, v[vgprValuC+31], v8, v9             // Clipping f32 value if exceeds the limit
v_cndmask_b32 v7, v7, v[vgprValuC+31], s[52:53]    // 
v_cvt_pk_bf8_f32  v25, v6, v7 op_sel:[0,0,1]       // convert two f32 accumulated values to fp8 and save it to hi_16[16:31]
_buffer_store_b64 v[24:25], v12, s[sgprSrdD:sgprSrdD+3], 0, offen, offset:0,  sc0 sc1 // store D
	;; [unrolled: 29-line block ×7, first 2 shown]
s_nop 0                                            // 1 wait state required when next inst writes vgprs held by previous dwordx4 store inst
s_branch label_GW_End_48                           // jump to end
GW_Beta_49:
s_and_b32 s52, 255, s[sgprSizeI]                   // s52 = s[sgprSizeI] % 256
s_add_u32 s53, -0x1, s[sgprNumWorkGroups0]         // 
s_cmp_ge_u32 s[sgprWorkGroup0], s53                // wg0 >= nwg0-1 ?
s_cselect_b32 s52, s52, 0                          // set rMT0
s_cmpk_gt_u32 s52, 0x0                             // rMT0 > 0
s_cbranch_scc1 GW_B1_E1_47                         // jump if edges required
s_and_b32 s52, 255, s[sgprSizeJ]                   // s52 = s[sgprSizeJ] % 256
s_add_u32 s53, -0x1, s[sgprNumWorkGroups1]         // 
s_cmp_ge_u32 s[sgprWorkGroup1], s53                // wg1 >= nwg1-1
s_cselect_b32 s52, s52, 0                          // set rMT1
s_cmpk_gt_u32 s52, 0x0                             // rMT1 > 0
s_cbranch_scc1 GW_B1_E1_47                         // jump if edges required
GW_B1_E0_44:

/* edge=0, allocate 2 sgpr. perBatchTmpS=2 perBatchMaskS=0 perElementMaskS=0 elementsPerBatch=23 */
/* optSingleColVgpr=1 optSharedColVgpr=0 optSGPRUsage=BufferLoad_Mask optSrdIncForRow=1 */

/******************************************/
/* Global Write Alpha Beta Batch #0 (d1,d0,vc1,vc0) = */
/*    (0,0,0,0:vw8); (0,0,1,0:vw8); (0,0,2,0:vw8); (0,0,3,0:vw8); (0,0,4,0:vw8); (0,0,5,0:vw8); (0,0,6,0:vw8); (0,0,7,0:vw8); (0,0,8,0:vw8); (0,0,9,0:vw8); (0,0,10,0:vw8); (0,0,11,0:vw8); (0,0,12,0:vw8); (0,0,13,0:vw8); (0,0,14,0:vw8); (0,0,15,0:vw8); (0,0,16,0:vw8); (0,0,17,0:vw8); (0,0,18,0:vw8); (0,0,19,0:vw8); (0,0,20,0:vw8); (0,0,21,0:vw8); (0,0,22,0:vw8) */
/******************************************/

/* calc coords, apply mask, and issue loads (if necessary) */
/* (d1,vc1,d0,vc0)=(0,0,0,0) */
_v_add_lshl_u32 v12, v2, v0, 0x0                   // optSingleColVgpr scaleToBpe: sharedAddrVgpr <- cinRowPtr + coord0, scaled by BPE. BSHERE:coord0=0, coord0Vgpr=0
_buffer_load_b64 v[14:15], v12, s[sgprSrdC:sgprSrdC+3], 0, offen offset:0,  sc0 sc1 // load C for beta calc
/* (d1,vc1,d0,vc0)=(0,1,0,0) */
s_lshl_b32  s52, s[sgprStrideC1J], 0               // incToNextRow: Scale by BPE
s_add_u32  s[sgprSrdC+0], s[sgprSrdC+0], s52       // incToNextRow: gra SRD += inc(lower)
s_addc_u32  s[sgprSrdC+1], s[sgprSrdC+1], 0        // incToNextRow: gra SRD += inc(upper)
_buffer_load_b64 v[24:25], v12, s[sgprSrdC:sgprSrdC+3], 0, offen offset:0,  sc0 sc1 // load C for beta calc
/* (d1,vc1,d0,vc0)=(0,2,0,0) */
s_lshl_b32  s52, s[sgprStrideC1J], 0               // incToNextRow: Scale by BPE
s_add_u32  s[sgprSrdC+0], s[sgprSrdC+0], s52       // incToNextRow: gra SRD += inc(lower)
s_addc_u32  s[sgprSrdC+1], s[sgprSrdC+1], 0        // incToNextRow: gra SRD += inc(upper)
	;; [unrolled: 5-line block ×22, first 2 shown]
_buffer_load_b64 v[226:227], v12, s[sgprSrdC:sgprSrdC+3], 0, offen offset:0,  sc0 sc1 // load C for beta calc
_v_add_lshl_u32 v11, v3, v0, 0x0                   // optSingleColVgpr scaleToBpe: sharedAddrVgpr <- cinRowPtr + coord0, scaled by BPE. BSHERE:coord0=0, coord0Vgpr=0
v_accvgpr_read_b32 v[vgprValuC+16], acc0 // copy acc to vreg[0]
v_accvgpr_read_b32 v[vgprValuC+17], acc4 // copy acc to vreg[1]
v_accvgpr_read_b32 v[vgprValuC+18], acc8 // copy acc to vreg[2]
v_accvgpr_read_b32 v[vgprValuC+19], acc12 // copy acc to vreg[3]
v_accvgpr_read_b32 v[vgprValuC+20], acc16 // copy acc to vreg[4]
v_accvgpr_read_b32 v[vgprValuC+21], acc20 // copy acc to vreg[5]
v_accvgpr_read_b32 v[vgprValuC+22], acc24 // copy acc to vreg[6]
v_accvgpr_read_b32 v[vgprValuC+23], acc28 // copy acc to vreg[7]
v_accvgpr_read_b32 v[vgprValuC+32], acc32 // copy acc to vreg[8]
v_accvgpr_read_b32 v[vgprValuC+33], acc36 // copy acc to vreg[9]
v_accvgpr_read_b32 v[vgprValuC+34], acc40 // copy acc to vreg[10]
v_accvgpr_read_b32 v[vgprValuC+35], acc44 // copy acc to vreg[11]
v_accvgpr_read_b32 v[vgprValuC+36], acc48 // copy acc to vreg[12]
v_accvgpr_read_b32 v[vgprValuC+37], acc52 // copy acc to vreg[13]
v_accvgpr_read_b32 v[vgprValuC+38], acc56 // copy acc to vreg[14]
v_accvgpr_read_b32 v[vgprValuC+39], acc60 // copy acc to vreg[15]
v_accvgpr_read_b32 v[vgprValuC+40], acc64 // copy acc to vreg[16]
v_accvgpr_read_b32 v[vgprValuC+41], acc68 // copy acc to vreg[17]
v_accvgpr_read_b32 v[vgprValuC+42], acc72 // copy acc to vreg[18]
v_accvgpr_read_b32 v[vgprValuC+43], acc76 // copy acc to vreg[19]
v_accvgpr_read_b32 v[vgprValuC+44], acc80 // copy acc to vreg[20]
v_accvgpr_read_b32 v[vgprValuC+45], acc84 // copy acc to vreg[21]
v_accvgpr_read_b32 v[vgprValuC+46], acc88 // copy acc to vreg[22]
v_accvgpr_read_b32 v[vgprValuC+47], acc92 // copy acc to vreg[23]
v_accvgpr_read_b32 v[vgprValuC+48], acc96 // copy acc to vreg[24]
v_accvgpr_read_b32 v[vgprValuC+49], acc100 // copy acc to vreg[25]
v_accvgpr_read_b32 v[vgprValuC+50], acc104 // copy acc to vreg[26]
v_accvgpr_read_b32 v[vgprValuC+51], acc108 // copy acc to vreg[27]
v_accvgpr_read_b32 v[vgprValuC+52], acc112 // copy acc to vreg[28]
v_accvgpr_read_b32 v[vgprValuC+53], acc116 // copy acc to vreg[29]
v_accvgpr_read_b32 v[vgprValuC+54], acc120 // copy acc to vreg[30]
v_accvgpr_read_b32 v[vgprValuC+55], acc124 // copy acc to vreg[31]
v_accvgpr_read_b32 v[vgprValuC+56], acc128 // copy acc to vreg[32]
v_accvgpr_read_b32 v[vgprValuC+57], acc132 // copy acc to vreg[33]
v_accvgpr_read_b32 v[vgprValuC+58], acc136 // copy acc to vreg[34]
v_accvgpr_read_b32 v[vgprValuC+59], acc140 // copy acc to vreg[35]
v_accvgpr_read_b32 v[vgprValuC+60], acc144 // copy acc to vreg[36]
v_accvgpr_read_b32 v[vgprValuC+61], acc148 // copy acc to vreg[37]
v_accvgpr_read_b32 v[vgprValuC+62], acc152 // copy acc to vreg[38]
v_accvgpr_read_b32 v[vgprValuC+63], acc156 // copy acc to vreg[39]
v_accvgpr_read_b32 v[vgprValuC+72], acc160 // copy acc to vreg[40]
v_accvgpr_read_b32 v[vgprValuC+73], acc164 // copy acc to vreg[41]
v_accvgpr_read_b32 v[vgprValuC+74], acc168 // copy acc to vreg[42]
v_accvgpr_read_b32 v[vgprValuC+75], acc172 // copy acc to vreg[43]
v_accvgpr_read_b32 v[vgprValuC+76], acc176 // copy acc to vreg[44]
v_accvgpr_read_b32 v[vgprValuC+77], acc180 // copy acc to vreg[45]
v_accvgpr_read_b32 v[vgprValuC+78], acc184 // copy acc to vreg[46]
v_accvgpr_read_b32 v[vgprValuC+79], acc188 // copy acc to vreg[47]
v_accvgpr_read_b32 v[vgprValuC+80], acc192 // copy acc to vreg[48]
v_accvgpr_read_b32 v[vgprValuC+81], acc196 // copy acc to vreg[49]
v_accvgpr_read_b32 v[vgprValuC+82], acc200 // copy acc to vreg[50]
v_accvgpr_read_b32 v[vgprValuC+83], acc204 // copy acc to vreg[51]
v_accvgpr_read_b32 v[vgprValuC+84], acc208 // copy acc to vreg[52]
v_accvgpr_read_b32 v[vgprValuC+85], acc212 // copy acc to vreg[53]
v_accvgpr_read_b32 v[vgprValuC+86], acc216 // copy acc to vreg[54]
v_accvgpr_read_b32 v[vgprValuC+87], acc220 // copy acc to vreg[55]
v_accvgpr_read_b32 v[vgprValuC+88], acc224 // copy acc to vreg[56]
v_accvgpr_read_b32 v[vgprValuC+89], acc228 // copy acc to vreg[57]
v_accvgpr_read_b32 v[vgprValuC+90], acc232 // copy acc to vreg[58]
v_accvgpr_read_b32 v[vgprValuC+91], acc236 // copy acc to vreg[59]
v_accvgpr_read_b32 v[vgprValuC+92], acc240 // copy acc to vreg[60]
v_accvgpr_read_b32 v[vgprValuC+93], acc244 // copy acc to vreg[61]
v_accvgpr_read_b32 v[vgprValuC+94], acc248 // copy acc to vreg[62]
v_accvgpr_read_b32 v[vgprValuC+95], acc252 // copy acc to vreg[63]
v_accvgpr_read_b32 v[vgprValuC+96], acc1 // copy acc to vreg[64]
v_accvgpr_read_b32 v[vgprValuC+97], acc5 // copy acc to vreg[65]
v_accvgpr_read_b32 v[vgprValuC+98], acc9 // copy acc to vreg[66]
v_accvgpr_read_b32 v[vgprValuC+99], acc13 // copy acc to vreg[67]
v_accvgpr_read_b32 v[vgprValuC+100], acc17 // copy acc to vreg[68]
v_accvgpr_read_b32 v[vgprValuC+101], acc21 // copy acc to vreg[69]
v_accvgpr_read_b32 v[vgprValuC+102], acc25 // copy acc to vreg[70]
v_accvgpr_read_b32 v[vgprValuC+103], acc29 // copy acc to vreg[71]
v_accvgpr_read_b32 v[vgprValuC+112], acc33 // copy acc to vreg[72]
v_accvgpr_read_b32 v[vgprValuC+113], acc37 // copy acc to vreg[73]
v_accvgpr_read_b32 v[vgprValuC+114], acc41 // copy acc to vreg[74]
v_accvgpr_read_b32 v[vgprValuC+115], acc45 // copy acc to vreg[75]
v_accvgpr_read_b32 v[vgprValuC+116], acc49 // copy acc to vreg[76]
v_accvgpr_read_b32 v[vgprValuC+117], acc53 // copy acc to vreg[77]
v_accvgpr_read_b32 v[vgprValuC+118], acc57 // copy acc to vreg[78]
v_accvgpr_read_b32 v[vgprValuC+119], acc61 // copy acc to vreg[79]
v_accvgpr_read_b32 v[vgprValuC+120], acc65 // copy acc to vreg[80]
v_accvgpr_read_b32 v[vgprValuC+121], acc69 // copy acc to vreg[81]
v_accvgpr_read_b32 v[vgprValuC+122], acc73 // copy acc to vreg[82]
v_accvgpr_read_b32 v[vgprValuC+123], acc77 // copy acc to vreg[83]
v_accvgpr_read_b32 v[vgprValuC+124], acc81 // copy acc to vreg[84]
v_accvgpr_read_b32 v[vgprValuC+125], acc85 // copy acc to vreg[85]
v_accvgpr_read_b32 v[vgprValuC+126], acc89 // copy acc to vreg[86]
v_accvgpr_read_b32 v[vgprValuC+127], acc93 // copy acc to vreg[87]
v_accvgpr_read_b32 v[vgprValuC+128], acc97 // copy acc to vreg[88]
v_accvgpr_read_b32 v[vgprValuC+129], acc101 // copy acc to vreg[89]
v_accvgpr_read_b32 v[vgprValuC+130], acc105 // copy acc to vreg[90]
v_accvgpr_read_b32 v[vgprValuC+131], acc109 // copy acc to vreg[91]
v_accvgpr_read_b32 v[vgprValuC+132], acc113 // copy acc to vreg[92]
v_accvgpr_read_b32 v[vgprValuC+133], acc117 // copy acc to vreg[93]
v_accvgpr_read_b32 v[vgprValuC+134], acc121 // copy acc to vreg[94]
v_accvgpr_read_b32 v[vgprValuC+135], acc125 // copy acc to vreg[95]
v_accvgpr_read_b32 v[vgprValuC+136], acc129 // copy acc to vreg[96]
v_accvgpr_read_b32 v[vgprValuC+137], acc133 // copy acc to vreg[97]
v_accvgpr_read_b32 v[vgprValuC+138], acc137 // copy acc to vreg[98]
v_accvgpr_read_b32 v[vgprValuC+139], acc141 // copy acc to vreg[99]
v_accvgpr_read_b32 v[vgprValuC+140], acc145 // copy acc to vreg[100]
v_accvgpr_read_b32 v[vgprValuC+141], acc149 // copy acc to vreg[101]
v_accvgpr_read_b32 v[vgprValuC+142], acc153 // copy acc to vreg[102]
v_accvgpr_read_b32 v[vgprValuC+143], acc157 // copy acc to vreg[103]
v_accvgpr_read_b32 v[vgprValuC+152], acc161 // copy acc to vreg[104]
v_accvgpr_read_b32 v[vgprValuC+153], acc165 // copy acc to vreg[105]
v_accvgpr_read_b32 v[vgprValuC+154], acc169 // copy acc to vreg[106]
v_accvgpr_read_b32 v[vgprValuC+155], acc173 // copy acc to vreg[107]
v_accvgpr_read_b32 v[vgprValuC+156], acc177 // copy acc to vreg[108]
v_accvgpr_read_b32 v[vgprValuC+157], acc181 // copy acc to vreg[109]
v_accvgpr_read_b32 v[vgprValuC+158], acc185 // copy acc to vreg[110]
v_accvgpr_read_b32 v[vgprValuC+159], acc189 // copy acc to vreg[111]
v_accvgpr_read_b32 v[vgprValuC+160], acc193 // copy acc to vreg[112]
v_accvgpr_read_b32 v[vgprValuC+161], acc197 // copy acc to vreg[113]
v_accvgpr_read_b32 v[vgprValuC+162], acc201 // copy acc to vreg[114]
v_accvgpr_read_b32 v[vgprValuC+163], acc205 // copy acc to vreg[115]
v_accvgpr_read_b32 v[vgprValuC+164], acc209 // copy acc to vreg[116]
v_accvgpr_read_b32 v[vgprValuC+165], acc213 // copy acc to vreg[117]
v_accvgpr_read_b32 v[vgprValuC+166], acc217 // copy acc to vreg[118]
v_accvgpr_read_b32 v[vgprValuC+167], acc221 // copy acc to vreg[119]
v_accvgpr_read_b32 v[vgprValuC+168], acc225 // copy acc to vreg[120]
v_accvgpr_read_b32 v[vgprValuC+169], acc229 // copy acc to vreg[121]
v_accvgpr_read_b32 v[vgprValuC+170], acc233 // copy acc to vreg[122]
v_accvgpr_read_b32 v[vgprValuC+171], acc237 // copy acc to vreg[123]
v_accvgpr_read_b32 v[vgprValuC+172], acc241 // copy acc to vreg[124]
v_accvgpr_read_b32 v[vgprValuC+173], acc245 // copy acc to vreg[125]
v_accvgpr_read_b32 v[vgprValuC+174], acc249 // copy acc to vreg[126]
v_accvgpr_read_b32 v[vgprValuC+175], acc253 // copy acc to vreg[127]
v_accvgpr_read_b32 v[vgprValuC+176], acc2 // copy acc to vreg[128]
v_accvgpr_read_b32 v[vgprValuC+177], acc6 // copy acc to vreg[129]
v_accvgpr_read_b32 v[vgprValuC+178], acc10 // copy acc to vreg[130]
v_accvgpr_read_b32 v[vgprValuC+179], acc14 // copy acc to vreg[131]
v_accvgpr_read_b32 v[vgprValuC+180], acc18 // copy acc to vreg[132]
v_accvgpr_read_b32 v[vgprValuC+181], acc22 // copy acc to vreg[133]
v_accvgpr_read_b32 v[vgprValuC+182], acc26 // copy acc to vreg[134]
v_accvgpr_read_b32 v[vgprValuC+183], acc30 // copy acc to vreg[135]
v_accvgpr_read_b32 v[vgprValuC+192], acc34 // copy acc to vreg[136]
v_accvgpr_read_b32 v[vgprValuC+193], acc38 // copy acc to vreg[137]
v_accvgpr_read_b32 v[vgprValuC+194], acc42 // copy acc to vreg[138]
v_accvgpr_read_b32 v[vgprValuC+195], acc46 // copy acc to vreg[139]
v_accvgpr_read_b32 v[vgprValuC+196], acc50 // copy acc to vreg[140]
v_accvgpr_read_b32 v[vgprValuC+197], acc54 // copy acc to vreg[141]
v_accvgpr_read_b32 v[vgprValuC+198], acc58 // copy acc to vreg[142]
v_accvgpr_read_b32 v[vgprValuC+199], acc62 // copy acc to vreg[143]
v_accvgpr_read_b32 v[vgprValuC+200], acc66 // copy acc to vreg[144]
v_accvgpr_read_b32 v[vgprValuC+201], acc70 // copy acc to vreg[145]
v_accvgpr_read_b32 v[vgprValuC+202], acc74 // copy acc to vreg[146]
v_accvgpr_read_b32 v[vgprValuC+203], acc78 // copy acc to vreg[147]
v_accvgpr_read_b32 v[vgprValuC+204], acc82 // copy acc to vreg[148]
v_accvgpr_read_b32 v[vgprValuC+205], acc86 // copy acc to vreg[149]
v_accvgpr_read_b32 v[vgprValuC+206], acc90 // copy acc to vreg[150]
v_accvgpr_read_b32 v[vgprValuC+207], acc94 // copy acc to vreg[151]
v_accvgpr_read_b32 v[vgprValuC+208], acc98 // copy acc to vreg[152]
v_accvgpr_read_b32 v[vgprValuC+209], acc102 // copy acc to vreg[153]
v_accvgpr_read_b32 v[vgprValuC+210], acc106 // copy acc to vreg[154]
v_accvgpr_read_b32 v[vgprValuC+211], acc110 // copy acc to vreg[155]
v_accvgpr_read_b32 v[vgprValuC+212], acc114 // copy acc to vreg[156]
v_accvgpr_read_b32 v[vgprValuC+213], acc118 // copy acc to vreg[157]
v_accvgpr_read_b32 v[vgprValuC+214], acc122 // copy acc to vreg[158]
v_accvgpr_read_b32 v[vgprValuC+215], acc126 // copy acc to vreg[159]
v_accvgpr_read_b32 v[vgprValuC+216], acc130 // copy acc to vreg[160]
v_accvgpr_read_b32 v[vgprValuC+217], acc134 // copy acc to vreg[161]
v_accvgpr_read_b32 v[vgprValuC+218], acc138 // copy acc to vreg[162]
v_accvgpr_read_b32 v[vgprValuC+219], acc142 // copy acc to vreg[163]
v_accvgpr_read_b32 v[vgprValuC+220], acc146 // copy acc to vreg[164]
v_accvgpr_read_b32 v[vgprValuC+221], acc150 // copy acc to vreg[165]
v_accvgpr_read_b32 v[vgprValuC+222], acc154 // copy acc to vreg[166]
v_accvgpr_read_b32 v[vgprValuC+223], acc158 // copy acc to vreg[167]
v_accvgpr_read_b32 v[vgprValuC+232], acc162 // copy acc to vreg[168]
v_accvgpr_read_b32 v[vgprValuC+233], acc166 // copy acc to vreg[169]
v_accvgpr_read_b32 v[vgprValuC+234], acc170 // copy acc to vreg[170]
v_accvgpr_read_b32 v[vgprValuC+235], acc174 // copy acc to vreg[171]
v_accvgpr_read_b32 v[vgprValuC+236], acc178 // copy acc to vreg[172]
v_accvgpr_read_b32 v[vgprValuC+237], acc182 // copy acc to vreg[173]
v_accvgpr_read_b32 v[vgprValuC+238], acc186 // copy acc to vreg[174]
v_accvgpr_read_b32 v[vgprValuC+239], acc190 // copy acc to vreg[175]
v_accvgpr_read_b32 v[vgprValuC+240], acc194 // copy acc to vreg[176]
v_accvgpr_read_b32 v[vgprValuC+241], acc198 // copy acc to vreg[177]
v_accvgpr_read_b32 v[vgprValuC+242], acc202 // copy acc to vreg[178]
v_accvgpr_read_b32 v[vgprValuC+243], acc206 // copy acc to vreg[179]
v_accvgpr_read_b32 v[vgprValuC+244], acc210 // copy acc to vreg[180]
v_accvgpr_read_b32 v[vgprValuC+245], acc214 // copy acc to vreg[181]
v_accvgpr_read_b32 v[vgprValuC+246], acc218 // copy acc to vreg[182]
v_accvgpr_read_b32 v[vgprValuC+247], acc222 // copy acc to vreg[183]
s_nop 1                                            // 2 wait states required before reading vgpr

/* rC *= alpha batchElements=[(0, 0, 0, 0), (0, 0, 1, 0), (0, 0, 2, 0), (0, 0, 3, 0), (0, 0, 4, 0), (0, 0, 5, 0), (0, 0, 6, 0), (0, 0, 7, 0), (0, 0, 8, 0), (0, 0, 9, 0), (0, 0, 10, 0), (0, 0, 11, 0), (0, 0, 12, 0), (0, 0, 13, 0), (0, 0, 14, 0), (0, 0, 15, 0), (0, 0, 16, 0), (0, 0, 17, 0), (0, 0, 18, 0), (0, 0, 19, 0), (0, 0, 20, 0), (0, 0, 21, 0), (0, 0, 22, 0)] */
v_mul_f32 v[vgprValuC+16], s[sgprAlpha], v[vgprValuC+16] // *= alpha
v_mul_f32 v[vgprValuC+17], s[sgprAlpha], v[vgprValuC+17] // *= alpha
	;; [unrolled: 1-line block ×184, first 2 shown]

/* apply mask, calc new C and issue writes */
v_mov_b32 v10, 0x207                               // flag for Nan and +/- inf
v_mov_b32 v8, 0x47600000                           // save 57344.0f as max for clipping
v_mov_b32 v9, 0xC7600000                           // save -57344`.0f as min for clipping

s_waitcnt vmcnt(22)                                // wait C (interleaved) 22 = 23 - 0 + 0 - 1
V_cvt_pk_f32_bf8 v[6:7], v14    // convert two f8 in lo_16 to f32
_v_mac_f32 v[vgprValuC+16], v6, s[sgprBeta]        // finalSum = sum*alpha + C*beta
_v_mac_f32 v[vgprValuC+17], v7, s[sgprBeta]        // finalSum = sum*alpha + C*beta
V_cvt_pk_f32_bf8 v[6:7], v14  src0_sel:WORD_1  // convert two f8 in hi_16 to f32
_v_mac_f32 v[vgprValuC+18], v6, s[sgprBeta]        // finalSum = sum*alpha + C*beta
_v_mac_f32 v[vgprValuC+19], v7, s[sgprBeta]        // finalSum = sum*alpha + C*beta
V_cvt_pk_f32_bf8 v[6:7], v15    // convert two f8 in lo_16 to f32
_v_mac_f32 v[vgprValuC+20], v6, s[sgprBeta]        // finalSum = sum*alpha + C*beta
_v_mac_f32 v[vgprValuC+21], v7, s[sgprBeta]        // finalSum = sum*alpha + C*beta
V_cvt_pk_f32_bf8 v[6:7], v15  src0_sel:WORD_1  // convert two f8 in hi_16 to f32
_v_mac_f32 v[vgprValuC+22], v6, s[sgprBeta]        // finalSum = sum*alpha + C*beta
_v_mac_f32 v[vgprValuC+23], v7, s[sgprBeta]        // finalSum = sum*alpha + C*beta
v_cmp_class_f32 s[52:53], v[vgprValuC+16], v10     // check NaN and +/-INF
v_med3_f32 v6, v[vgprValuC+16], v8, v9             // Clipping f32 value if exceeds the limit
v_cndmask_b32 v6, v6, v[vgprValuC+16], s[52:53]    // 
v_cmp_class_f32 s[52:53], v[vgprValuC+17], v10     // check NaN and +/-INF
v_med3_f32 v7, v[vgprValuC+17], v8, v9             // Clipping f32 value if exceeds the limit
v_cndmask_b32 v7, v7, v[vgprValuC+17], s[52:53]    // 
v_cvt_pk_bf8_f32  v16, v6, v7 op_sel:[0,0,0]       // convert two f32 accumulated values to fp8 and save it to lo_16[0:15]
v_cmp_class_f32 s[52:53], v[vgprValuC+18], v10     // check NaN and +/-INF
v_med3_f32 v6, v[vgprValuC+18], v8, v9             // Clipping f32 value if exceeds the limit
v_cndmask_b32 v6, v6, v[vgprValuC+18], s[52:53]    // 
v_cmp_class_f32 s[52:53], v[vgprValuC+19], v10     // check NaN and +/-INF
v_med3_f32 v7, v[vgprValuC+19], v8, v9             // Clipping f32 value if exceeds the limit
v_cndmask_b32 v7, v7, v[vgprValuC+19], s[52:53]    // 
v_cvt_pk_bf8_f32  v16, v6, v7 op_sel:[0,0,1]       // convert two f32 accumulated values to fp8 and save it to hi_16[16:31]
v_cmp_class_f32 s[52:53], v[vgprValuC+20], v10     // check NaN and +/-INF
v_med3_f32 v6, v[vgprValuC+20], v8, v9             // Clipping f32 value if exceeds the limit
v_cndmask_b32 v6, v6, v[vgprValuC+20], s[52:53]    // 
v_cmp_class_f32 s[52:53], v[vgprValuC+21], v10     // check NaN and +/-INF
v_med3_f32 v7, v[vgprValuC+21], v8, v9             // Clipping f32 value if exceeds the limit
v_cndmask_b32 v7, v7, v[vgprValuC+21], s[52:53]    // 
v_cvt_pk_bf8_f32  v17, v6, v7 op_sel:[0,0,0]       // convert two f32 accumulated values to fp8 and save it to lo_16[0:15]
v_cmp_class_f32 s[52:53], v[vgprValuC+22], v10     // check NaN and +/-INF
v_med3_f32 v6, v[vgprValuC+22], v8, v9             // Clipping f32 value if exceeds the limit
v_cndmask_b32 v6, v6, v[vgprValuC+22], s[52:53]    // 
v_cmp_class_f32 s[52:53], v[vgprValuC+23], v10     // check NaN and +/-INF
v_med3_f32 v7, v[vgprValuC+23], v8, v9             // Clipping f32 value if exceeds the limit
v_cndmask_b32 v7, v7, v[vgprValuC+23], s[52:53]    // 
v_cvt_pk_bf8_f32  v17, v6, v7 op_sel:[0,0,1]       // convert two f32 accumulated values to fp8 and save it to hi_16[16:31]
_buffer_store_b64 v[16:17], v11, s[sgprSrdD:sgprSrdD+3], 0, offen, offset:0,  sc0 sc1 // store D

s_waitcnt vmcnt(22)                                // wait C (interleaved) 22 = 23 - 1 + 1 - 1
V_cvt_pk_f32_bf8 v[6:7], v24    // convert two f8 in lo_16 to f32
_v_mac_f32 v[vgprValuC+32], v6, s[sgprBeta]        // finalSum = sum*alpha + C*beta
_v_mac_f32 v[vgprValuC+33], v7, s[sgprBeta]        // finalSum = sum*alpha + C*beta
V_cvt_pk_f32_bf8 v[6:7], v24  src0_sel:WORD_1  // convert two f8 in hi_16 to f32
_v_mac_f32 v[vgprValuC+34], v6, s[sgprBeta]        // finalSum = sum*alpha + C*beta
_v_mac_f32 v[vgprValuC+35], v7, s[sgprBeta]        // finalSum = sum*alpha + C*beta
V_cvt_pk_f32_bf8 v[6:7], v25    // convert two f8 in lo_16 to f32
_v_mac_f32 v[vgprValuC+36], v6, s[sgprBeta]        // finalSum = sum*alpha + C*beta
_v_mac_f32 v[vgprValuC+37], v7, s[sgprBeta]        // finalSum = sum*alpha + C*beta
V_cvt_pk_f32_bf8 v[6:7], v25  src0_sel:WORD_1  // convert two f8 in hi_16 to f32
_v_mac_f32 v[vgprValuC+38], v6, s[sgprBeta]        // finalSum = sum*alpha + C*beta
_v_mac_f32 v[vgprValuC+39], v7, s[sgprBeta]        // finalSum = sum*alpha + C*beta
v_cmp_class_f32 s[52:53], v[vgprValuC+32], v10     // check NaN and +/-INF
v_med3_f32 v6, v[vgprValuC+32], v8, v9             // Clipping f32 value if exceeds the limit
v_cndmask_b32 v6, v6, v[vgprValuC+32], s[52:53]    // 
v_cmp_class_f32 s[52:53], v[vgprValuC+33], v10     // check NaN and +/-INF
v_med3_f32 v7, v[vgprValuC+33], v8, v9             // Clipping f32 value if exceeds the limit
v_cndmask_b32 v7, v7, v[vgprValuC+33], s[52:53]    // 
v_cvt_pk_bf8_f32  v32, v6, v7 op_sel:[0,0,0]       // convert two f32 accumulated values to fp8 and save it to lo_16[0:15]
v_cmp_class_f32 s[52:53], v[vgprValuC+34], v10     // check NaN and +/-INF
v_med3_f32 v6, v[vgprValuC+34], v8, v9             // Clipping f32 value if exceeds the limit
v_cndmask_b32 v6, v6, v[vgprValuC+34], s[52:53]    // 
v_cmp_class_f32 s[52:53], v[vgprValuC+35], v10     // check NaN and +/-INF
v_med3_f32 v7, v[vgprValuC+35], v8, v9             // Clipping f32 value if exceeds the limit
v_cndmask_b32 v7, v7, v[vgprValuC+35], s[52:53]    // 
v_cvt_pk_bf8_f32  v32, v6, v7 op_sel:[0,0,1]       // convert two f32 accumulated values to fp8 and save it to hi_16[16:31]
v_cmp_class_f32 s[52:53], v[vgprValuC+36], v10     // check NaN and +/-INF
v_med3_f32 v6, v[vgprValuC+36], v8, v9             // Clipping f32 value if exceeds the limit
v_cndmask_b32 v6, v6, v[vgprValuC+36], s[52:53]    // 
v_cmp_class_f32 s[52:53], v[vgprValuC+37], v10     // check NaN and +/-INF
v_med3_f32 v7, v[vgprValuC+37], v8, v9             // Clipping f32 value if exceeds the limit
v_cndmask_b32 v7, v7, v[vgprValuC+37], s[52:53]    // 
v_cvt_pk_bf8_f32  v33, v6, v7 op_sel:[0,0,0]       // convert two f32 accumulated values to fp8 and save it to lo_16[0:15]
v_cmp_class_f32 s[52:53], v[vgprValuC+38], v10     // check NaN and +/-INF
v_med3_f32 v6, v[vgprValuC+38], v8, v9             // Clipping f32 value if exceeds the limit
v_cndmask_b32 v6, v6, v[vgprValuC+38], s[52:53]    // 
v_cmp_class_f32 s[52:53], v[vgprValuC+39], v10     // check NaN and +/-INF
v_med3_f32 v7, v[vgprValuC+39], v8, v9             // Clipping f32 value if exceeds the limit
v_cndmask_b32 v7, v7, v[vgprValuC+39], s[52:53]    // 
v_cvt_pk_bf8_f32  v33, v6, v7 op_sel:[0,0,1]       // convert two f32 accumulated values to fp8 and save it to hi_16[16:31]
s_lshl_b32  s52, s[sgprStrideD1J], 0               // incToNextRow: Scale by BPE
s_add_u32  s[sgprSrdD+0], s[sgprSrdD+0], s52       // incToNextRow: gra SRD += inc(lower)
s_addc_u32  s[sgprSrdD+1], s[sgprSrdD+1], 0        // incToNextRow: gra SRD += inc(upper)
_buffer_store_b64 v[32:33], v11, s[sgprSrdD:sgprSrdD+3], 0, offen, offset:0,  sc0 sc1 // store D

s_waitcnt vmcnt(22)                                // wait C (interleaved) 22 = 23 - 2 + 2 - 1
V_cvt_pk_f32_bf8 v[6:7], v26    // convert two f8 in lo_16 to f32
_v_mac_f32 v[vgprValuC+40], v6, s[sgprBeta]        // finalSum = sum*alpha + C*beta
_v_mac_f32 v[vgprValuC+41], v7, s[sgprBeta]        // finalSum = sum*alpha + C*beta
V_cvt_pk_f32_bf8 v[6:7], v26  src0_sel:WORD_1  // convert two f8 in hi_16 to f32
_v_mac_f32 v[vgprValuC+42], v6, s[sgprBeta]        // finalSum = sum*alpha + C*beta
_v_mac_f32 v[vgprValuC+43], v7, s[sgprBeta]        // finalSum = sum*alpha + C*beta
V_cvt_pk_f32_bf8 v[6:7], v27    // convert two f8 in lo_16 to f32
_v_mac_f32 v[vgprValuC+44], v6, s[sgprBeta]        // finalSum = sum*alpha + C*beta
_v_mac_f32 v[vgprValuC+45], v7, s[sgprBeta]        // finalSum = sum*alpha + C*beta
V_cvt_pk_f32_bf8 v[6:7], v27  src0_sel:WORD_1  // convert two f8 in hi_16 to f32
_v_mac_f32 v[vgprValuC+46], v6, s[sgprBeta]        // finalSum = sum*alpha + C*beta
_v_mac_f32 v[vgprValuC+47], v7, s[sgprBeta]        // finalSum = sum*alpha + C*beta
v_cmp_class_f32 s[52:53], v[vgprValuC+40], v10     // check NaN and +/-INF
v_med3_f32 v6, v[vgprValuC+40], v8, v9             // Clipping f32 value if exceeds the limit
v_cndmask_b32 v6, v6, v[vgprValuC+40], s[52:53]    // 
v_cmp_class_f32 s[52:53], v[vgprValuC+41], v10     // check NaN and +/-INF
v_med3_f32 v7, v[vgprValuC+41], v8, v9             // Clipping f32 value if exceeds the limit
v_cndmask_b32 v7, v7, v[vgprValuC+41], s[52:53]    // 
v_cvt_pk_bf8_f32  v40, v6, v7 op_sel:[0,0,0]       // convert two f32 accumulated values to fp8 and save it to lo_16[0:15]
v_cmp_class_f32 s[52:53], v[vgprValuC+42], v10     // check NaN and +/-INF
v_med3_f32 v6, v[vgprValuC+42], v8, v9             // Clipping f32 value if exceeds the limit
v_cndmask_b32 v6, v6, v[vgprValuC+42], s[52:53]    // 
v_cmp_class_f32 s[52:53], v[vgprValuC+43], v10     // check NaN and +/-INF
v_med3_f32 v7, v[vgprValuC+43], v8, v9             // Clipping f32 value if exceeds the limit
v_cndmask_b32 v7, v7, v[vgprValuC+43], s[52:53]    // 
v_cvt_pk_bf8_f32  v40, v6, v7 op_sel:[0,0,1]       // convert two f32 accumulated values to fp8 and save it to hi_16[16:31]
v_cmp_class_f32 s[52:53], v[vgprValuC+44], v10     // check NaN and +/-INF
v_med3_f32 v6, v[vgprValuC+44], v8, v9             // Clipping f32 value if exceeds the limit
v_cndmask_b32 v6, v6, v[vgprValuC+44], s[52:53]    // 
v_cmp_class_f32 s[52:53], v[vgprValuC+45], v10     // check NaN and +/-INF
v_med3_f32 v7, v[vgprValuC+45], v8, v9             // Clipping f32 value if exceeds the limit
v_cndmask_b32 v7, v7, v[vgprValuC+45], s[52:53]    // 
v_cvt_pk_bf8_f32  v41, v6, v7 op_sel:[0,0,0]       // convert two f32 accumulated values to fp8 and save it to lo_16[0:15]
v_cmp_class_f32 s[52:53], v[vgprValuC+46], v10     // check NaN and +/-INF
v_med3_f32 v6, v[vgprValuC+46], v8, v9             // Clipping f32 value if exceeds the limit
v_cndmask_b32 v6, v6, v[vgprValuC+46], s[52:53]    // 
v_cmp_class_f32 s[52:53], v[vgprValuC+47], v10     // check NaN and +/-INF
v_med3_f32 v7, v[vgprValuC+47], v8, v9             // Clipping f32 value if exceeds the limit
v_cndmask_b32 v7, v7, v[vgprValuC+47], s[52:53]    // 
v_cvt_pk_bf8_f32  v41, v6, v7 op_sel:[0,0,1]       // convert two f32 accumulated values to fp8 and save it to hi_16[16:31]
s_lshl_b32  s52, s[sgprStrideD1J], 0               // incToNextRow: Scale by BPE
s_add_u32  s[sgprSrdD+0], s[sgprSrdD+0], s52       // incToNextRow: gra SRD += inc(lower)
s_addc_u32  s[sgprSrdD+1], s[sgprSrdD+1], 0        // incToNextRow: gra SRD += inc(upper)
	;; [unrolled: 46-line block ×7, first 2 shown]
_buffer_store_b64 v[88:89], v11, s[sgprSrdD:sgprSrdD+3], 0, offen, offset:0,  sc0 sc1 // store D

s_waitcnt vmcnt(22)                                // wait C (interleaved) 22 = 23 - 8 + 8 - 1
V_cvt_pk_f32_bf8 v[6:7], v70    // convert two f8 in lo_16 to f32
_v_mac_f32 v[vgprValuC+96], v6, s[sgprBeta]        // finalSum = sum*alpha + C*beta
_v_mac_f32 v[vgprValuC+97], v7, s[sgprBeta]        // finalSum = sum*alpha + C*beta
V_cvt_pk_f32_bf8 v[6:7], v70  src0_sel:WORD_1  // convert two f8 in hi_16 to f32
_v_mac_f32 v[vgprValuC+98], v6, s[sgprBeta]        // finalSum = sum*alpha + C*beta
_v_mac_f32 v[vgprValuC+99], v7, s[sgprBeta]        // finalSum = sum*alpha + C*beta
V_cvt_pk_f32_bf8 v[6:7], v71    // convert two f8 in lo_16 to f32
_v_mac_f32 v[vgprValuC+100], v6, s[sgprBeta]       // finalSum = sum*alpha + C*beta
_v_mac_f32 v[vgprValuC+101], v7, s[sgprBeta]       // finalSum = sum*alpha + C*beta
V_cvt_pk_f32_bf8 v[6:7], v71  src0_sel:WORD_1  // convert two f8 in hi_16 to f32
_v_mac_f32 v[vgprValuC+102], v6, s[sgprBeta]       // finalSum = sum*alpha + C*beta
_v_mac_f32 v[vgprValuC+103], v7, s[sgprBeta]       // finalSum = sum*alpha + C*beta
v_cmp_class_f32 s[52:53], v[vgprValuC+96], v10     // check NaN and +/-INF
v_med3_f32 v6, v[vgprValuC+96], v8, v9             // Clipping f32 value if exceeds the limit
v_cndmask_b32 v6, v6, v[vgprValuC+96], s[52:53]    // 
v_cmp_class_f32 s[52:53], v[vgprValuC+97], v10     // check NaN and +/-INF
v_med3_f32 v7, v[vgprValuC+97], v8, v9             // Clipping f32 value if exceeds the limit
v_cndmask_b32 v7, v7, v[vgprValuC+97], s[52:53]    // 
v_cvt_pk_bf8_f32  v96, v6, v7 op_sel:[0,0,0]       // convert two f32 accumulated values to fp8 and save it to lo_16[0:15]
v_cmp_class_f32 s[52:53], v[vgprValuC+98], v10     // check NaN and +/-INF
v_med3_f32 v6, v[vgprValuC+98], v8, v9             // Clipping f32 value if exceeds the limit
v_cndmask_b32 v6, v6, v[vgprValuC+98], s[52:53]    // 
v_cmp_class_f32 s[52:53], v[vgprValuC+99], v10     // check NaN and +/-INF
v_med3_f32 v7, v[vgprValuC+99], v8, v9             // Clipping f32 value if exceeds the limit
v_cndmask_b32 v7, v7, v[vgprValuC+99], s[52:53]    // 
v_cvt_pk_bf8_f32  v96, v6, v7 op_sel:[0,0,1]       // convert two f32 accumulated values to fp8 and save it to hi_16[16:31]
v_cmp_class_f32 s[52:53], v[vgprValuC+100], v10    // check NaN and +/-INF
v_med3_f32 v6, v[vgprValuC+100], v8, v9            // Clipping f32 value if exceeds the limit
v_cndmask_b32 v6, v6, v[vgprValuC+100], s[52:53]   // 
v_cmp_class_f32 s[52:53], v[vgprValuC+101], v10    // check NaN and +/-INF
v_med3_f32 v7, v[vgprValuC+101], v8, v9            // Clipping f32 value if exceeds the limit
v_cndmask_b32 v7, v7, v[vgprValuC+101], s[52:53]   // 
v_cvt_pk_bf8_f32  v97, v6, v7 op_sel:[0,0,0]       // convert two f32 accumulated values to fp8 and save it to lo_16[0:15]
v_cmp_class_f32 s[52:53], v[vgprValuC+102], v10    // check NaN and +/-INF
v_med3_f32 v6, v[vgprValuC+102], v8, v9            // Clipping f32 value if exceeds the limit
v_cndmask_b32 v6, v6, v[vgprValuC+102], s[52:53]   // 
v_cmp_class_f32 s[52:53], v[vgprValuC+103], v10    // check NaN and +/-INF
v_med3_f32 v7, v[vgprValuC+103], v8, v9            // Clipping f32 value if exceeds the limit
v_cndmask_b32 v7, v7, v[vgprValuC+103], s[52:53]   // 
v_cvt_pk_bf8_f32  v97, v6, v7 op_sel:[0,0,1]       // convert two f32 accumulated values to fp8 and save it to hi_16[16:31]
s_lshl_b32  s52, s[sgprStrideD1J], 0               // incToNextRow: Scale by BPE
s_add_u32  s[sgprSrdD+0], s[sgprSrdD+0], s52       // incToNextRow: gra SRD += inc(lower)
s_addc_u32  s[sgprSrdD+1], s[sgprSrdD+1], 0        // incToNextRow: gra SRD += inc(upper)
_buffer_store_b64 v[96:97], v11, s[sgprSrdD:sgprSrdD+3], 0, offen, offset:0,  sc0 sc1 // store D

s_waitcnt vmcnt(22)                                // wait C (interleaved) 22 = 23 - 9 + 9 - 1
V_cvt_pk_f32_bf8 v[6:7], v104    // convert two f8 in lo_16 to f32
_v_mac_f32 v[vgprValuC+112], v6, s[sgprBeta]       // finalSum = sum*alpha + C*beta
_v_mac_f32 v[vgprValuC+113], v7, s[sgprBeta]       // finalSum = sum*alpha + C*beta
V_cvt_pk_f32_bf8 v[6:7], v104  src0_sel:WORD_1  // convert two f8 in hi_16 to f32
_v_mac_f32 v[vgprValuC+114], v6, s[sgprBeta]       // finalSum = sum*alpha + C*beta
_v_mac_f32 v[vgprValuC+115], v7, s[sgprBeta]       // finalSum = sum*alpha + C*beta
V_cvt_pk_f32_bf8 v[6:7], v105    // convert two f8 in lo_16 to f32
_v_mac_f32 v[vgprValuC+116], v6, s[sgprBeta]       // finalSum = sum*alpha + C*beta
_v_mac_f32 v[vgprValuC+117], v7, s[sgprBeta]       // finalSum = sum*alpha + C*beta
V_cvt_pk_f32_bf8 v[6:7], v105  src0_sel:WORD_1  // convert two f8 in hi_16 to f32
_v_mac_f32 v[vgprValuC+118], v6, s[sgprBeta]       // finalSum = sum*alpha + C*beta
_v_mac_f32 v[vgprValuC+119], v7, s[sgprBeta]       // finalSum = sum*alpha + C*beta
v_cmp_class_f32 s[52:53], v[vgprValuC+112], v10    // check NaN and +/-INF
v_med3_f32 v6, v[vgprValuC+112], v8, v9            // Clipping f32 value if exceeds the limit
v_cndmask_b32 v6, v6, v[vgprValuC+112], s[52:53]   // 
v_cmp_class_f32 s[52:53], v[vgprValuC+113], v10    // check NaN and +/-INF
v_med3_f32 v7, v[vgprValuC+113], v8, v9            // Clipping f32 value if exceeds the limit
v_cndmask_b32 v7, v7, v[vgprValuC+113], s[52:53]   // 
v_cvt_pk_bf8_f32  v112, v6, v7 op_sel:[0,0,0]      // convert two f32 accumulated values to fp8 and save it to lo_16[0:15]
v_cmp_class_f32 s[52:53], v[vgprValuC+114], v10    // check NaN and +/-INF
v_med3_f32 v6, v[vgprValuC+114], v8, v9            // Clipping f32 value if exceeds the limit
v_cndmask_b32 v6, v6, v[vgprValuC+114], s[52:53]   // 
v_cmp_class_f32 s[52:53], v[vgprValuC+115], v10    // check NaN and +/-INF
v_med3_f32 v7, v[vgprValuC+115], v8, v9            // Clipping f32 value if exceeds the limit
v_cndmask_b32 v7, v7, v[vgprValuC+115], s[52:53]   // 
v_cvt_pk_bf8_f32  v112, v6, v7 op_sel:[0,0,1]      // convert two f32 accumulated values to fp8 and save it to hi_16[16:31]
v_cmp_class_f32 s[52:53], v[vgprValuC+116], v10    // check NaN and +/-INF
v_med3_f32 v6, v[vgprValuC+116], v8, v9            // Clipping f32 value if exceeds the limit
v_cndmask_b32 v6, v6, v[vgprValuC+116], s[52:53]   // 
v_cmp_class_f32 s[52:53], v[vgprValuC+117], v10    // check NaN and +/-INF
v_med3_f32 v7, v[vgprValuC+117], v8, v9            // Clipping f32 value if exceeds the limit
v_cndmask_b32 v7, v7, v[vgprValuC+117], s[52:53]   // 
v_cvt_pk_bf8_f32  v113, v6, v7 op_sel:[0,0,0]      // convert two f32 accumulated values to fp8 and save it to lo_16[0:15]
v_cmp_class_f32 s[52:53], v[vgprValuC+118], v10    // check NaN and +/-INF
v_med3_f32 v6, v[vgprValuC+118], v8, v9            // Clipping f32 value if exceeds the limit
v_cndmask_b32 v6, v6, v[vgprValuC+118], s[52:53]   // 
v_cmp_class_f32 s[52:53], v[vgprValuC+119], v10    // check NaN and +/-INF
v_med3_f32 v7, v[vgprValuC+119], v8, v9            // Clipping f32 value if exceeds the limit
v_cndmask_b32 v7, v7, v[vgprValuC+119], s[52:53]   // 
v_cvt_pk_bf8_f32  v113, v6, v7 op_sel:[0,0,1]      // convert two f32 accumulated values to fp8 and save it to hi_16[16:31]
s_lshl_b32  s52, s[sgprStrideD1J], 0               // incToNextRow: Scale by BPE
s_add_u32  s[sgprSrdD+0], s[sgprSrdD+0], s52       // incToNextRow: gra SRD += inc(lower)
s_addc_u32  s[sgprSrdD+1], s[sgprSrdD+1], 0        // incToNextRow: gra SRD += inc(upper)
_buffer_store_b64 v[112:113], v11, s[sgprSrdD:sgprSrdD+3], 0, offen, offset:0,  sc0 sc1 // store D

s_waitcnt vmcnt(22)                                // wait C (interleaved) 22 = 23 - 10 + 10 - 1
V_cvt_pk_f32_bf8 v[6:7], v106    // convert two f8 in lo_16 to f32
_v_mac_f32 v[vgprValuC+120], v6, s[sgprBeta]       // finalSum = sum*alpha + C*beta
_v_mac_f32 v[vgprValuC+121], v7, s[sgprBeta]       // finalSum = sum*alpha + C*beta
V_cvt_pk_f32_bf8 v[6:7], v106  src0_sel:WORD_1  // convert two f8 in hi_16 to f32
_v_mac_f32 v[vgprValuC+122], v6, s[sgprBeta]       // finalSum = sum*alpha + C*beta
_v_mac_f32 v[vgprValuC+123], v7, s[sgprBeta]       // finalSum = sum*alpha + C*beta
V_cvt_pk_f32_bf8 v[6:7], v107    // convert two f8 in lo_16 to f32
_v_mac_f32 v[vgprValuC+124], v6, s[sgprBeta]       // finalSum = sum*alpha + C*beta
_v_mac_f32 v[vgprValuC+125], v7, s[sgprBeta]       // finalSum = sum*alpha + C*beta
V_cvt_pk_f32_bf8 v[6:7], v107  src0_sel:WORD_1  // convert two f8 in hi_16 to f32
_v_mac_f32 v[vgprValuC+126], v6, s[sgprBeta]       // finalSum = sum*alpha + C*beta
_v_mac_f32 v[vgprValuC+127], v7, s[sgprBeta]       // finalSum = sum*alpha + C*beta
v_cmp_class_f32 s[52:53], v[vgprValuC+120], v10    // check NaN and +/-INF
v_med3_f32 v6, v[vgprValuC+120], v8, v9            // Clipping f32 value if exceeds the limit
v_cndmask_b32 v6, v6, v[vgprValuC+120], s[52:53]   // 
v_cmp_class_f32 s[52:53], v[vgprValuC+121], v10    // check NaN and +/-INF
v_med3_f32 v7, v[vgprValuC+121], v8, v9            // Clipping f32 value if exceeds the limit
v_cndmask_b32 v7, v7, v[vgprValuC+121], s[52:53]   // 
v_cvt_pk_bf8_f32  v120, v6, v7 op_sel:[0,0,0]      // convert two f32 accumulated values to fp8 and save it to lo_16[0:15]
v_cmp_class_f32 s[52:53], v[vgprValuC+122], v10    // check NaN and +/-INF
v_med3_f32 v6, v[vgprValuC+122], v8, v9            // Clipping f32 value if exceeds the limit
v_cndmask_b32 v6, v6, v[vgprValuC+122], s[52:53]   // 
v_cmp_class_f32 s[52:53], v[vgprValuC+123], v10    // check NaN and +/-INF
v_med3_f32 v7, v[vgprValuC+123], v8, v9            // Clipping f32 value if exceeds the limit
v_cndmask_b32 v7, v7, v[vgprValuC+123], s[52:53]   // 
v_cvt_pk_bf8_f32  v120, v6, v7 op_sel:[0,0,1]      // convert two f32 accumulated values to fp8 and save it to hi_16[16:31]
v_cmp_class_f32 s[52:53], v[vgprValuC+124], v10    // check NaN and +/-INF
v_med3_f32 v6, v[vgprValuC+124], v8, v9            // Clipping f32 value if exceeds the limit
v_cndmask_b32 v6, v6, v[vgprValuC+124], s[52:53]   // 
v_cmp_class_f32 s[52:53], v[vgprValuC+125], v10    // check NaN and +/-INF
v_med3_f32 v7, v[vgprValuC+125], v8, v9            // Clipping f32 value if exceeds the limit
v_cndmask_b32 v7, v7, v[vgprValuC+125], s[52:53]   // 
v_cvt_pk_bf8_f32  v121, v6, v7 op_sel:[0,0,0]      // convert two f32 accumulated values to fp8 and save it to lo_16[0:15]
v_cmp_class_f32 s[52:53], v[vgprValuC+126], v10    // check NaN and +/-INF
v_med3_f32 v6, v[vgprValuC+126], v8, v9            // Clipping f32 value if exceeds the limit
v_cndmask_b32 v6, v6, v[vgprValuC+126], s[52:53]   // 
v_cmp_class_f32 s[52:53], v[vgprValuC+127], v10    // check NaN and +/-INF
v_med3_f32 v7, v[vgprValuC+127], v8, v9            // Clipping f32 value if exceeds the limit
v_cndmask_b32 v7, v7, v[vgprValuC+127], s[52:53]   // 
v_cvt_pk_bf8_f32  v121, v6, v7 op_sel:[0,0,1]      // convert two f32 accumulated values to fp8 and save it to hi_16[16:31]
	;; [unrolled: 46-line block ×14, first 2 shown]
s_lshl_b32  s52, s[sgprStrideD1J], 0               // incToNextRow: Scale by BPE
s_add_u32  s[sgprSrdD+0], s[sgprSrdD+0], s52       // incToNextRow: gra SRD += inc(lower)
s_addc_u32  s[sgprSrdD+1], s[sgprSrdD+1], 0        // incToNextRow: gra SRD += inc(upper)
_buffer_store_b64 v[240:241], v11, s[sgprSrdD:sgprSrdD+3], 0, offen, offset:0,  sc0 sc1 // store D
s_nop 0                                            // 1 wait state required when next inst writes vgprs held by previous dwordx4 store inst
/* optSingleColVgpr=1 optSharedColVgpr=0 optSGPRUsage=BufferLoad_Mask optSrdIncForRow=1 */

/******************************************/
/* Global Write Alpha Beta Batch #1 (d1,d0,vc1,vc0) = */
/*    (0,0,23,0:vw8); (0,0,24,0:vw8); (0,0,25,0:vw8); (0,0,26,0:vw8); (0,0,27,0:vw8); (0,0,28,0:vw8); (0,0,29,0:vw8); (0,0,30,0:vw8); (0,0,31,0:vw8) */
/******************************************/

/* calc coords, apply mask, and issue loads (if necessary) */
/* (d1,vc1,d0,vc0)=(0,23,0,0) */
s_lshl_b32  s52, s[sgprStrideC1J], 0               // incToNextRow: Scale by BPE
s_add_u32  s[sgprSrdC+0], s[sgprSrdC+0], s52       // incToNextRow: gra SRD += inc(lower)
s_addc_u32  s[sgprSrdC+1], s[sgprSrdC+1], 0        // incToNextRow: gra SRD += inc(upper)
_buffer_load_b64 v[14:15], v12, s[sgprSrdC:sgprSrdC+3], 0, offen offset:0,  sc0 sc1 // load C for beta calc
/* (d1,vc1,d0,vc0)=(0,24,0,0) */
s_lshl_b32  s52, s[sgprStrideC1J], 0               // incToNextRow: Scale by BPE
s_add_u32  s[sgprSrdC+0], s[sgprSrdC+0], s52       // incToNextRow: gra SRD += inc(lower)
s_addc_u32  s[sgprSrdC+1], s[sgprSrdC+1], 0        // incToNextRow: gra SRD += inc(upper)
_buffer_load_b64 v[24:25], v12, s[sgprSrdC:sgprSrdC+3], 0, offen offset:0,  sc0 sc1 // load C for beta calc
	;; [unrolled: 5-line block ×9, first 2 shown]
v_accvgpr_read_b32 v[vgprValuC+16], acc226 // copy acc to vreg[184]
v_accvgpr_read_b32 v[vgprValuC+17], acc230 // copy acc to vreg[185]
v_accvgpr_read_b32 v[vgprValuC+18], acc234 // copy acc to vreg[186]
v_accvgpr_read_b32 v[vgprValuC+19], acc238 // copy acc to vreg[187]
v_accvgpr_read_b32 v[vgprValuC+20], acc242 // copy acc to vreg[188]
v_accvgpr_read_b32 v[vgprValuC+21], acc246 // copy acc to vreg[189]
v_accvgpr_read_b32 v[vgprValuC+22], acc250 // copy acc to vreg[190]
v_accvgpr_read_b32 v[vgprValuC+23], acc254 // copy acc to vreg[191]
v_accvgpr_read_b32 v[vgprValuC+32], acc3 // copy acc to vreg[192]
v_accvgpr_read_b32 v[vgprValuC+33], acc7 // copy acc to vreg[193]
v_accvgpr_read_b32 v[vgprValuC+34], acc11 // copy acc to vreg[194]
v_accvgpr_read_b32 v[vgprValuC+35], acc15 // copy acc to vreg[195]
v_accvgpr_read_b32 v[vgprValuC+36], acc19 // copy acc to vreg[196]
v_accvgpr_read_b32 v[vgprValuC+37], acc23 // copy acc to vreg[197]
v_accvgpr_read_b32 v[vgprValuC+38], acc27 // copy acc to vreg[198]
v_accvgpr_read_b32 v[vgprValuC+39], acc31 // copy acc to vreg[199]
v_accvgpr_read_b32 v[vgprValuC+40], acc35 // copy acc to vreg[200]
v_accvgpr_read_b32 v[vgprValuC+41], acc39 // copy acc to vreg[201]
v_accvgpr_read_b32 v[vgprValuC+42], acc43 // copy acc to vreg[202]
v_accvgpr_read_b32 v[vgprValuC+43], acc47 // copy acc to vreg[203]
v_accvgpr_read_b32 v[vgprValuC+44], acc51 // copy acc to vreg[204]
v_accvgpr_read_b32 v[vgprValuC+45], acc55 // copy acc to vreg[205]
v_accvgpr_read_b32 v[vgprValuC+46], acc59 // copy acc to vreg[206]
v_accvgpr_read_b32 v[vgprValuC+47], acc63 // copy acc to vreg[207]
v_accvgpr_read_b32 v[vgprValuC+48], acc67 // copy acc to vreg[208]
v_accvgpr_read_b32 v[vgprValuC+49], acc71 // copy acc to vreg[209]
v_accvgpr_read_b32 v[vgprValuC+50], acc75 // copy acc to vreg[210]
v_accvgpr_read_b32 v[vgprValuC+51], acc79 // copy acc to vreg[211]
v_accvgpr_read_b32 v[vgprValuC+52], acc83 // copy acc to vreg[212]
v_accvgpr_read_b32 v[vgprValuC+53], acc87 // copy acc to vreg[213]
v_accvgpr_read_b32 v[vgprValuC+54], acc91 // copy acc to vreg[214]
v_accvgpr_read_b32 v[vgprValuC+55], acc95 // copy acc to vreg[215]
v_accvgpr_read_b32 v[vgprValuC+56], acc99 // copy acc to vreg[216]
v_accvgpr_read_b32 v[vgprValuC+57], acc103 // copy acc to vreg[217]
v_accvgpr_read_b32 v[vgprValuC+58], acc107 // copy acc to vreg[218]
v_accvgpr_read_b32 v[vgprValuC+59], acc111 // copy acc to vreg[219]
v_accvgpr_read_b32 v[vgprValuC+60], acc115 // copy acc to vreg[220]
v_accvgpr_read_b32 v[vgprValuC+61], acc119 // copy acc to vreg[221]
v_accvgpr_read_b32 v[vgprValuC+62], acc123 // copy acc to vreg[222]
v_accvgpr_read_b32 v[vgprValuC+63], acc127 // copy acc to vreg[223]
v_accvgpr_read_b32 v[vgprValuC+72], acc131 // copy acc to vreg[224]
v_accvgpr_read_b32 v[vgprValuC+73], acc135 // copy acc to vreg[225]
v_accvgpr_read_b32 v[vgprValuC+74], acc139 // copy acc to vreg[226]
v_accvgpr_read_b32 v[vgprValuC+75], acc143 // copy acc to vreg[227]
v_accvgpr_read_b32 v[vgprValuC+76], acc147 // copy acc to vreg[228]
v_accvgpr_read_b32 v[vgprValuC+77], acc151 // copy acc to vreg[229]
v_accvgpr_read_b32 v[vgprValuC+78], acc155 // copy acc to vreg[230]
v_accvgpr_read_b32 v[vgprValuC+79], acc159 // copy acc to vreg[231]
v_accvgpr_read_b32 v[vgprValuC+80], acc163 // copy acc to vreg[232]
v_accvgpr_read_b32 v[vgprValuC+81], acc167 // copy acc to vreg[233]
v_accvgpr_read_b32 v[vgprValuC+82], acc171 // copy acc to vreg[234]
v_accvgpr_read_b32 v[vgprValuC+83], acc175 // copy acc to vreg[235]
v_accvgpr_read_b32 v[vgprValuC+84], acc179 // copy acc to vreg[236]
v_accvgpr_read_b32 v[vgprValuC+85], acc183 // copy acc to vreg[237]
v_accvgpr_read_b32 v[vgprValuC+86], acc187 // copy acc to vreg[238]
v_accvgpr_read_b32 v[vgprValuC+87], acc191 // copy acc to vreg[239]
v_accvgpr_read_b32 v[vgprValuC+88], acc195 // copy acc to vreg[240]
v_accvgpr_read_b32 v[vgprValuC+89], acc199 // copy acc to vreg[241]
v_accvgpr_read_b32 v[vgprValuC+90], acc203 // copy acc to vreg[242]
v_accvgpr_read_b32 v[vgprValuC+91], acc207 // copy acc to vreg[243]
v_accvgpr_read_b32 v[vgprValuC+92], acc211 // copy acc to vreg[244]
v_accvgpr_read_b32 v[vgprValuC+93], acc215 // copy acc to vreg[245]
v_accvgpr_read_b32 v[vgprValuC+94], acc219 // copy acc to vreg[246]
v_accvgpr_read_b32 v[vgprValuC+95], acc223 // copy acc to vreg[247]
v_accvgpr_read_b32 v[vgprValuC+96], acc227 // copy acc to vreg[248]
v_accvgpr_read_b32 v[vgprValuC+97], acc231 // copy acc to vreg[249]
v_accvgpr_read_b32 v[vgprValuC+98], acc235 // copy acc to vreg[250]
v_accvgpr_read_b32 v[vgprValuC+99], acc239 // copy acc to vreg[251]
v_accvgpr_read_b32 v[vgprValuC+100], acc243 // copy acc to vreg[252]
v_accvgpr_read_b32 v[vgprValuC+101], acc247 // copy acc to vreg[253]
v_accvgpr_read_b32 v[vgprValuC+102], acc251 // copy acc to vreg[254]
v_accvgpr_read_b32 v[vgprValuC+103], acc255 // copy acc to vreg[255]
s_nop 1                                            // 2 wait states required before reading vgpr

/* rC *= alpha batchElements=[(0, 0, 23, 0), (0, 0, 24, 0), (0, 0, 25, 0), (0, 0, 26, 0), (0, 0, 27, 0), (0, 0, 28, 0), (0, 0, 29, 0), (0, 0, 30, 0), (0, 0, 31, 0)] */
v_mul_f32 v[vgprValuC+16], s[sgprAlpha], v[vgprValuC+16] // *= alpha
v_mul_f32 v[vgprValuC+17], s[sgprAlpha], v[vgprValuC+17] // *= alpha
	;; [unrolled: 1-line block ×72, first 2 shown]

/* apply mask, calc new C and issue writes */
v_mov_b32 v10, 0x207                               // flag for Nan and +/- inf
v_mov_b32 v8, 0x47600000                           // save 57344.0f as max for clipping
v_mov_b32 v9, 0xC7600000                           // save -57344`.0f as min for clipping

s_waitcnt vmcnt(8)                                 // wait C (interleaved) 8 = 9 - 0 + 0 - 1
V_cvt_pk_f32_bf8 v[6:7], v14    // convert two f8 in lo_16 to f32
_v_mac_f32 v[vgprValuC+16], v6, s[sgprBeta]        // finalSum = sum*alpha + C*beta
_v_mac_f32 v[vgprValuC+17], v7, s[sgprBeta]        // finalSum = sum*alpha + C*beta
V_cvt_pk_f32_bf8 v[6:7], v14  src0_sel:WORD_1  // convert two f8 in hi_16 to f32
_v_mac_f32 v[vgprValuC+18], v6, s[sgprBeta]        // finalSum = sum*alpha + C*beta
_v_mac_f32 v[vgprValuC+19], v7, s[sgprBeta]        // finalSum = sum*alpha + C*beta
V_cvt_pk_f32_bf8 v[6:7], v15    // convert two f8 in lo_16 to f32
_v_mac_f32 v[vgprValuC+20], v6, s[sgprBeta]        // finalSum = sum*alpha + C*beta
_v_mac_f32 v[vgprValuC+21], v7, s[sgprBeta]        // finalSum = sum*alpha + C*beta
V_cvt_pk_f32_bf8 v[6:7], v15  src0_sel:WORD_1  // convert two f8 in hi_16 to f32
_v_mac_f32 v[vgprValuC+22], v6, s[sgprBeta]        // finalSum = sum*alpha + C*beta
_v_mac_f32 v[vgprValuC+23], v7, s[sgprBeta]        // finalSum = sum*alpha + C*beta
v_cmp_class_f32 s[52:53], v[vgprValuC+16], v10     // check NaN and +/-INF
v_med3_f32 v6, v[vgprValuC+16], v8, v9             // Clipping f32 value if exceeds the limit
v_cndmask_b32 v6, v6, v[vgprValuC+16], s[52:53]    // 
v_cmp_class_f32 s[52:53], v[vgprValuC+17], v10     // check NaN and +/-INF
v_med3_f32 v7, v[vgprValuC+17], v8, v9             // Clipping f32 value if exceeds the limit
v_cndmask_b32 v7, v7, v[vgprValuC+17], s[52:53]    // 
v_cvt_pk_bf8_f32  v16, v6, v7 op_sel:[0,0,0]       // convert two f32 accumulated values to fp8 and save it to lo_16[0:15]
v_cmp_class_f32 s[52:53], v[vgprValuC+18], v10     // check NaN and +/-INF
v_med3_f32 v6, v[vgprValuC+18], v8, v9             // Clipping f32 value if exceeds the limit
v_cndmask_b32 v6, v6, v[vgprValuC+18], s[52:53]    // 
v_cmp_class_f32 s[52:53], v[vgprValuC+19], v10     // check NaN and +/-INF
v_med3_f32 v7, v[vgprValuC+19], v8, v9             // Clipping f32 value if exceeds the limit
v_cndmask_b32 v7, v7, v[vgprValuC+19], s[52:53]    // 
v_cvt_pk_bf8_f32  v16, v6, v7 op_sel:[0,0,1]       // convert two f32 accumulated values to fp8 and save it to hi_16[16:31]
v_cmp_class_f32 s[52:53], v[vgprValuC+20], v10     // check NaN and +/-INF
v_med3_f32 v6, v[vgprValuC+20], v8, v9             // Clipping f32 value if exceeds the limit
v_cndmask_b32 v6, v6, v[vgprValuC+20], s[52:53]    // 
v_cmp_class_f32 s[52:53], v[vgprValuC+21], v10     // check NaN and +/-INF
v_med3_f32 v7, v[vgprValuC+21], v8, v9             // Clipping f32 value if exceeds the limit
v_cndmask_b32 v7, v7, v[vgprValuC+21], s[52:53]    // 
v_cvt_pk_bf8_f32  v17, v6, v7 op_sel:[0,0,0]       // convert two f32 accumulated values to fp8 and save it to lo_16[0:15]
v_cmp_class_f32 s[52:53], v[vgprValuC+22], v10     // check NaN and +/-INF
v_med3_f32 v6, v[vgprValuC+22], v8, v9             // Clipping f32 value if exceeds the limit
v_cndmask_b32 v6, v6, v[vgprValuC+22], s[52:53]    // 
v_cmp_class_f32 s[52:53], v[vgprValuC+23], v10     // check NaN and +/-INF
v_med3_f32 v7, v[vgprValuC+23], v8, v9             // Clipping f32 value if exceeds the limit
v_cndmask_b32 v7, v7, v[vgprValuC+23], s[52:53]    // 
v_cvt_pk_bf8_f32  v17, v6, v7 op_sel:[0,0,1]       // convert two f32 accumulated values to fp8 and save it to hi_16[16:31]
s_lshl_b32  s52, s[sgprStrideD1J], 0               // incToNextRow: Scale by BPE
s_add_u32  s[sgprSrdD+0], s[sgprSrdD+0], s52       // incToNextRow: gra SRD += inc(lower)
s_addc_u32  s[sgprSrdD+1], s[sgprSrdD+1], 0        // incToNextRow: gra SRD += inc(upper)
_buffer_store_b64 v[16:17], v11, s[sgprSrdD:sgprSrdD+3], 0, offen, offset:0,  sc0 sc1 // store D

s_waitcnt vmcnt(8)                                 // wait C (interleaved) 8 = 9 - 1 + 1 - 1
V_cvt_pk_f32_bf8 v[6:7], v24    // convert two f8 in lo_16 to f32
_v_mac_f32 v[vgprValuC+32], v6, s[sgprBeta]        // finalSum = sum*alpha + C*beta
_v_mac_f32 v[vgprValuC+33], v7, s[sgprBeta]        // finalSum = sum*alpha + C*beta
V_cvt_pk_f32_bf8 v[6:7], v24  src0_sel:WORD_1  // convert two f8 in hi_16 to f32
_v_mac_f32 v[vgprValuC+34], v6, s[sgprBeta]        // finalSum = sum*alpha + C*beta
_v_mac_f32 v[vgprValuC+35], v7, s[sgprBeta]        // finalSum = sum*alpha + C*beta
V_cvt_pk_f32_bf8 v[6:7], v25    // convert two f8 in lo_16 to f32
_v_mac_f32 v[vgprValuC+36], v6, s[sgprBeta]        // finalSum = sum*alpha + C*beta
_v_mac_f32 v[vgprValuC+37], v7, s[sgprBeta]        // finalSum = sum*alpha + C*beta
V_cvt_pk_f32_bf8 v[6:7], v25  src0_sel:WORD_1  // convert two f8 in hi_16 to f32
_v_mac_f32 v[vgprValuC+38], v6, s[sgprBeta]        // finalSum = sum*alpha + C*beta
_v_mac_f32 v[vgprValuC+39], v7, s[sgprBeta]        // finalSum = sum*alpha + C*beta
v_cmp_class_f32 s[52:53], v[vgprValuC+32], v10     // check NaN and +/-INF
v_med3_f32 v6, v[vgprValuC+32], v8, v9             // Clipping f32 value if exceeds the limit
v_cndmask_b32 v6, v6, v[vgprValuC+32], s[52:53]    // 
v_cmp_class_f32 s[52:53], v[vgprValuC+33], v10     // check NaN and +/-INF
v_med3_f32 v7, v[vgprValuC+33], v8, v9             // Clipping f32 value if exceeds the limit
v_cndmask_b32 v7, v7, v[vgprValuC+33], s[52:53]    // 
v_cvt_pk_bf8_f32  v32, v6, v7 op_sel:[0,0,0]       // convert two f32 accumulated values to fp8 and save it to lo_16[0:15]
v_cmp_class_f32 s[52:53], v[vgprValuC+34], v10     // check NaN and +/-INF
v_med3_f32 v6, v[vgprValuC+34], v8, v9             // Clipping f32 value if exceeds the limit
v_cndmask_b32 v6, v6, v[vgprValuC+34], s[52:53]    // 
v_cmp_class_f32 s[52:53], v[vgprValuC+35], v10     // check NaN and +/-INF
v_med3_f32 v7, v[vgprValuC+35], v8, v9             // Clipping f32 value if exceeds the limit
v_cndmask_b32 v7, v7, v[vgprValuC+35], s[52:53]    // 
v_cvt_pk_bf8_f32  v32, v6, v7 op_sel:[0,0,1]       // convert two f32 accumulated values to fp8 and save it to hi_16[16:31]
v_cmp_class_f32 s[52:53], v[vgprValuC+36], v10     // check NaN and +/-INF
v_med3_f32 v6, v[vgprValuC+36], v8, v9             // Clipping f32 value if exceeds the limit
v_cndmask_b32 v6, v6, v[vgprValuC+36], s[52:53]    // 
v_cmp_class_f32 s[52:53], v[vgprValuC+37], v10     // check NaN and +/-INF
v_med3_f32 v7, v[vgprValuC+37], v8, v9             // Clipping f32 value if exceeds the limit
v_cndmask_b32 v7, v7, v[vgprValuC+37], s[52:53]    // 
v_cvt_pk_bf8_f32  v33, v6, v7 op_sel:[0,0,0]       // convert two f32 accumulated values to fp8 and save it to lo_16[0:15]
v_cmp_class_f32 s[52:53], v[vgprValuC+38], v10     // check NaN and +/-INF
v_med3_f32 v6, v[vgprValuC+38], v8, v9             // Clipping f32 value if exceeds the limit
v_cndmask_b32 v6, v6, v[vgprValuC+38], s[52:53]    // 
v_cmp_class_f32 s[52:53], v[vgprValuC+39], v10     // check NaN and +/-INF
v_med3_f32 v7, v[vgprValuC+39], v8, v9             // Clipping f32 value if exceeds the limit
v_cndmask_b32 v7, v7, v[vgprValuC+39], s[52:53]    // 
v_cvt_pk_bf8_f32  v33, v6, v7 op_sel:[0,0,1]       // convert two f32 accumulated values to fp8 and save it to hi_16[16:31]
s_lshl_b32  s52, s[sgprStrideD1J], 0               // incToNextRow: Scale by BPE
s_add_u32  s[sgprSrdD+0], s[sgprSrdD+0], s52       // incToNextRow: gra SRD += inc(lower)
s_addc_u32  s[sgprSrdD+1], s[sgprSrdD+1], 0        // incToNextRow: gra SRD += inc(upper)
_buffer_store_b64 v[32:33], v11, s[sgprSrdD:sgprSrdD+3], 0, offen, offset:0,  sc0 sc1 // store D
	;; [unrolled: 46-line block ×8, first 2 shown]

s_waitcnt vmcnt(8)                                 // wait C (interleaved) 8 = 9 - 8 + 8 - 1
V_cvt_pk_f32_bf8 v[6:7], v70    // convert two f8 in lo_16 to f32
_v_mac_f32 v[vgprValuC+96], v6, s[sgprBeta]        // finalSum = sum*alpha + C*beta
_v_mac_f32 v[vgprValuC+97], v7, s[sgprBeta]        // finalSum = sum*alpha + C*beta
V_cvt_pk_f32_bf8 v[6:7], v70  src0_sel:WORD_1  // convert two f8 in hi_16 to f32
_v_mac_f32 v[vgprValuC+98], v6, s[sgprBeta]        // finalSum = sum*alpha + C*beta
_v_mac_f32 v[vgprValuC+99], v7, s[sgprBeta]        // finalSum = sum*alpha + C*beta
V_cvt_pk_f32_bf8 v[6:7], v71    // convert two f8 in lo_16 to f32
_v_mac_f32 v[vgprValuC+100], v6, s[sgprBeta]       // finalSum = sum*alpha + C*beta
_v_mac_f32 v[vgprValuC+101], v7, s[sgprBeta]       // finalSum = sum*alpha + C*beta
V_cvt_pk_f32_bf8 v[6:7], v71  src0_sel:WORD_1  // convert two f8 in hi_16 to f32
_v_mac_f32 v[vgprValuC+102], v6, s[sgprBeta]       // finalSum = sum*alpha + C*beta
_v_mac_f32 v[vgprValuC+103], v7, s[sgprBeta]       // finalSum = sum*alpha + C*beta
v_cmp_class_f32 s[52:53], v[vgprValuC+96], v10     // check NaN and +/-INF
v_med3_f32 v6, v[vgprValuC+96], v8, v9             // Clipping f32 value if exceeds the limit
v_cndmask_b32 v6, v6, v[vgprValuC+96], s[52:53]    // 
v_cmp_class_f32 s[52:53], v[vgprValuC+97], v10     // check NaN and +/-INF
v_med3_f32 v7, v[vgprValuC+97], v8, v9             // Clipping f32 value if exceeds the limit
v_cndmask_b32 v7, v7, v[vgprValuC+97], s[52:53]    // 
v_cvt_pk_bf8_f32  v96, v6, v7 op_sel:[0,0,0]       // convert two f32 accumulated values to fp8 and save it to lo_16[0:15]
v_cmp_class_f32 s[52:53], v[vgprValuC+98], v10     // check NaN and +/-INF
v_med3_f32 v6, v[vgprValuC+98], v8, v9             // Clipping f32 value if exceeds the limit
v_cndmask_b32 v6, v6, v[vgprValuC+98], s[52:53]    // 
v_cmp_class_f32 s[52:53], v[vgprValuC+99], v10     // check NaN and +/-INF
v_med3_f32 v7, v[vgprValuC+99], v8, v9             // Clipping f32 value if exceeds the limit
v_cndmask_b32 v7, v7, v[vgprValuC+99], s[52:53]    // 
v_cvt_pk_bf8_f32  v96, v6, v7 op_sel:[0,0,1]       // convert two f32 accumulated values to fp8 and save it to hi_16[16:31]
v_cmp_class_f32 s[52:53], v[vgprValuC+100], v10    // check NaN and +/-INF
v_med3_f32 v6, v[vgprValuC+100], v8, v9            // Clipping f32 value if exceeds the limit
v_cndmask_b32 v6, v6, v[vgprValuC+100], s[52:53]   // 
v_cmp_class_f32 s[52:53], v[vgprValuC+101], v10    // check NaN and +/-INF
v_med3_f32 v7, v[vgprValuC+101], v8, v9            // Clipping f32 value if exceeds the limit
v_cndmask_b32 v7, v7, v[vgprValuC+101], s[52:53]   // 
v_cvt_pk_bf8_f32  v97, v6, v7 op_sel:[0,0,0]       // convert two f32 accumulated values to fp8 and save it to lo_16[0:15]
v_cmp_class_f32 s[52:53], v[vgprValuC+102], v10    // check NaN and +/-INF
v_med3_f32 v6, v[vgprValuC+102], v8, v9            // Clipping f32 value if exceeds the limit
v_cndmask_b32 v6, v6, v[vgprValuC+102], s[52:53]   // 
v_cmp_class_f32 s[52:53], v[vgprValuC+103], v10    // check NaN and +/-INF
v_med3_f32 v7, v[vgprValuC+103], v8, v9            // Clipping f32 value if exceeds the limit
v_cndmask_b32 v7, v7, v[vgprValuC+103], s[52:53]   // 
v_cvt_pk_bf8_f32  v97, v6, v7 op_sel:[0,0,1]       // convert two f32 accumulated values to fp8 and save it to hi_16[16:31]
s_lshl_b32  s52, s[sgprStrideD1J], 0               // incToNextRow: Scale by BPE
s_add_u32  s[sgprSrdD+0], s[sgprSrdD+0], s52       // incToNextRow: gra SRD += inc(lower)
s_addc_u32  s[sgprSrdD+1], s[sgprSrdD+1], 0        // incToNextRow: gra SRD += inc(upper)
_buffer_store_b64 v[96:97], v11, s[sgprSrdD:sgprSrdD+3], 0, offen, offset:0,  sc0 sc1 // store D
s_nop 0                                            // 1 wait state required when next inst writes vgprs held by previous dwordx4 store inst
s_branch label_GW_End_48                           // jump to end
GW_B1_E1_47:

/* edge=1, allocate 6 sgpr. perBatchTmpS=4 perBatchMaskS=2 perElementMaskS=0 elementsPerBatch=21 */
/* optSingleColVgpr=0 optSharedColVgpr=0 optSGPRUsage=BufferLoad_Edge_Mask optSrdIncForRow=0 */

/******************************************/
/* Global Write Alpha Beta Edge Batch #0 (d1,d0,vc1,vc0) = */
/*    (0,0,0,0:vw8); (0,0,1,0:vw8); (0,0,2,0:vw8); (0,0,3,0:vw8); (0,0,4,0:vw8); (0,0,5,0:vw8); (0,0,6,0:vw8); (0,0,7,0:vw8); (0,0,8,0:vw8); (0,0,9,0:vw8); (0,0,10,0:vw8); (0,0,11,0:vw8); (0,0,12,0:vw8); (0,0,13,0:vw8); (0,0,14,0:vw8); (0,0,15,0:vw8); (0,0,16,0:vw8); (0,0,17,0:vw8); (0,0,18,0:vw8); (0,0,19,0:vw8); (0,0,20,0:vw8) */
/******************************************/

/* calc coords, apply mask, and issue loads (if necessary) */
/* (d1,vc1,d0,vc0)=(0,0,0,0) */
v_cmp_lt_u32 s[52:53], v0, s[sgprSizeI]            // coord0 < size0
v_cmp_lt_u32 s[56:57], v1, s[sgprSizeJ]            // coord1 < size1
s_and_b64 s[56:57], s[52:53], s[56:57]             // in0 && in1
_v_add_lshl_u32 v11, v2, v0, 0x0                   // scaleToBpe: accumulate d0 lower and *= bpe into Cin addr
v_cndmask_b32 v11, -1, v11, s[56:57]               // LDC clip if OOB. offset
_buffer_load_b64 v[12:13], v11, s[sgprSrdC:sgprSrdC+3], 0, offen offset:0,  sc0 sc1 // load C for beta calc
_v_add_lshl_u32 v11, v3, v0, 0x0                   // scaleToBpe: accumulate d0 lower and *= bpe into Cin addr
v_cndmask_b32 v11, -1, v11, s[56:57]               // LDD clip if OOB. offset
/* (d1,vc1,d0,vc0)=(0,1,0,0) */
_v_add_co_u32 v1, vcc, v1, 1                       // coord1.1: coord1Vgpr += d1*sg1*VW + vc1

/* Fix for UseInitialStridesCD, emitAddressSetupCode */
_v_add_u32 v2, v2, s[sgprStrideC1J]                // ROWINC- Move cinRowPtr to next row
_v_add_u32 v3, v3, s[sgprStrideD1J]                // Move coutRowPtr to next row
v_cmp_lt_u32 s[52:53], v0, s[sgprSizeI]            // coord0 < size0
v_cmp_lt_u32 s[56:57], v1, s[sgprSizeJ]            // coord1 < size1
s_and_b64 s[56:57], s[52:53], s[56:57]             // in0 && in1
_v_add_lshl_u32 v14, v2, v0, 0x0                   // scaleToBpe: accumulate d0 lower and *= bpe into Cin addr
v_cndmask_b32 v14, -1, v14, s[56:57]               // LDC clip if OOB. offset
_buffer_load_b64 v[24:25], v14, s[sgprSrdC:sgprSrdC+3], 0, offen offset:0,  sc0 sc1 // load C for beta calc
_v_add_lshl_u32 v14, v3, v0, 0x0                   // scaleToBpe: accumulate d0 lower and *= bpe into Cin addr
v_cndmask_b32 v14, -1, v14, s[56:57]               // LDD clip if OOB. offset
/* (d1,vc1,d0,vc0)=(0,2,0,0) */
_v_add_co_u32 v1, vcc, v1, 1                       // coord1.1: coord1Vgpr += d1*sg1*VW + vc1

/* Fix for UseInitialStridesCD, emitAddressSetupCode */
_v_add_u32 v2, v2, s[sgprStrideC1J]                // ROWINC- Move cinRowPtr to next row
_v_add_u32 v3, v3, s[sgprStrideD1J]                // Move coutRowPtr to next row
	;; [unrolled: 14-line block ×11, first 2 shown]
v_cmp_lt_u32 s[52:53], v0, s[sgprSizeI]            // coord0 < size0
v_cmp_lt_u32 s[56:57], v1, s[sgprSizeJ]            // coord1 < size1
s_and_b64 s[56:57], s[52:53], s[56:57]             // in0 && in1
_v_add_lshl_u32 v116, v2, v0, 0x0                  // scaleToBpe: accumulate d0 lower and *= bpe into Cin addr
v_cndmask_b32 v116, -1, v116, s[56:57]             // LDC clip if OOB. offset
_buffer_load_b64 v[118:119], v116, s[sgprSrdC:sgprSrdC+3], 0, offen offset:0,  sc0 sc1 // load C for beta calc
_v_add_lshl_u32 v116, v3, v0, 0x0                  // scaleToBpe: accumulate d0 lower and *= bpe into Cin addr
v_cndmask_b32 v116, -1, v116, s[56:57]             // LDD clip if OOB. offset
/* (d1,vc1,d0,vc0)=(0,12,0,0) */
_v_add_co_u32 v1, vcc, v1, 1                       // coord1.1: coord1Vgpr += d1*sg1*VW + vc1

/* Fix for UseInitialStridesCD, emitAddressSetupCode */
_v_add_u32 v2, v2, s[sgprStrideC1J]                // ROWINC- Move cinRowPtr to next row
_v_add_u32 v3, v3, s[sgprStrideD1J]                // Move coutRowPtr to next row
v_cmp_lt_u32 s[52:53], v0, s[sgprSizeI]            // coord0 < size0
v_cmp_lt_u32 s[56:57], v1, s[sgprSizeJ]            // coord1 < size1
s_and_b64 s[56:57], s[52:53], s[56:57]             // in0 && in1
_v_add_lshl_u32 v117, v2, v0, 0x0                  // scaleToBpe: accumulate d0 lower and *= bpe into Cin addr
v_cndmask_b32 v117, -1, v117, s[56:57]             // LDC clip if OOB. offset
_buffer_load_b64 v[144:145], v117, s[sgprSrdC:sgprSrdC+3], 0, offen offset:0,  sc0 sc1 // load C for beta calc
_v_add_lshl_u32 v117, v3, v0, 0x0                  // scaleToBpe: accumulate d0 lower and *= bpe into Cin addr
v_cndmask_b32 v117, -1, v117, s[56:57]             // LDD clip if OOB. offset
/* (d1,vc1,d0,vc0)=(0,13,0,0) */
_v_add_co_u32 v1, vcc, v1, 1                       // coord1.1: coord1Vgpr += d1*sg1*VW + vc1

/* Fix for UseInitialStridesCD, emitAddressSetupCode */
_v_add_u32 v2, v2, s[sgprStrideC1J]                // ROWINC- Move cinRowPtr to next row
_v_add_u32 v3, v3, s[sgprStrideD1J]                // Move coutRowPtr to next row
	;; [unrolled: 14-line block ×9, first 2 shown]
v_cmp_lt_u32 s[52:53], v0, s[sgprSizeI]            // coord0 < size0
v_cmp_lt_u32 s[56:57], v1, s[sgprSizeJ]            // coord1 < size1
s_and_b64 s[56:57], s[52:53], s[56:57]             // in0 && in1
_v_add_lshl_u32 v205, v2, v0, 0x0                  // scaleToBpe: accumulate d0 lower and *= bpe into Cin addr
v_cndmask_b32 v205, -1, v205, s[56:57]             // LDC clip if OOB. offset
_buffer_load_b64 v[224:225], v205, s[sgprSrdC:sgprSrdC+3], 0, offen offset:0,  sc0 sc1 // load C for beta calc
_v_add_lshl_u32 v205, v3, v0, 0x0                  // scaleToBpe: accumulate d0 lower and *= bpe into Cin addr
v_cndmask_b32 v205, -1, v205, s[56:57]             // LDD clip if OOB. offset
v_accvgpr_read_b32 v[vgprValuC+16], acc0 // copy acc to vreg[0]
v_accvgpr_read_b32 v[vgprValuC+17], acc4 // copy acc to vreg[1]
v_accvgpr_read_b32 v[vgprValuC+18], acc8 // copy acc to vreg[2]
v_accvgpr_read_b32 v[vgprValuC+19], acc12 // copy acc to vreg[3]
v_accvgpr_read_b32 v[vgprValuC+20], acc16 // copy acc to vreg[4]
v_accvgpr_read_b32 v[vgprValuC+21], acc20 // copy acc to vreg[5]
v_accvgpr_read_b32 v[vgprValuC+22], acc24 // copy acc to vreg[6]
v_accvgpr_read_b32 v[vgprValuC+23], acc28 // copy acc to vreg[7]
v_accvgpr_read_b32 v[vgprValuC+32], acc32 // copy acc to vreg[8]
v_accvgpr_read_b32 v[vgprValuC+33], acc36 // copy acc to vreg[9]
v_accvgpr_read_b32 v[vgprValuC+34], acc40 // copy acc to vreg[10]
v_accvgpr_read_b32 v[vgprValuC+35], acc44 // copy acc to vreg[11]
v_accvgpr_read_b32 v[vgprValuC+36], acc48 // copy acc to vreg[12]
v_accvgpr_read_b32 v[vgprValuC+37], acc52 // copy acc to vreg[13]
v_accvgpr_read_b32 v[vgprValuC+38], acc56 // copy acc to vreg[14]
v_accvgpr_read_b32 v[vgprValuC+39], acc60 // copy acc to vreg[15]
v_accvgpr_read_b32 v[vgprValuC+40], acc64 // copy acc to vreg[16]
v_accvgpr_read_b32 v[vgprValuC+41], acc68 // copy acc to vreg[17]
v_accvgpr_read_b32 v[vgprValuC+42], acc72 // copy acc to vreg[18]
v_accvgpr_read_b32 v[vgprValuC+43], acc76 // copy acc to vreg[19]
v_accvgpr_read_b32 v[vgprValuC+44], acc80 // copy acc to vreg[20]
v_accvgpr_read_b32 v[vgprValuC+45], acc84 // copy acc to vreg[21]
v_accvgpr_read_b32 v[vgprValuC+46], acc88 // copy acc to vreg[22]
v_accvgpr_read_b32 v[vgprValuC+47], acc92 // copy acc to vreg[23]
v_accvgpr_read_b32 v[vgprValuC+48], acc96 // copy acc to vreg[24]
v_accvgpr_read_b32 v[vgprValuC+49], acc100 // copy acc to vreg[25]
v_accvgpr_read_b32 v[vgprValuC+50], acc104 // copy acc to vreg[26]
v_accvgpr_read_b32 v[vgprValuC+51], acc108 // copy acc to vreg[27]
v_accvgpr_read_b32 v[vgprValuC+52], acc112 // copy acc to vreg[28]
v_accvgpr_read_b32 v[vgprValuC+53], acc116 // copy acc to vreg[29]
v_accvgpr_read_b32 v[vgprValuC+54], acc120 // copy acc to vreg[30]
v_accvgpr_read_b32 v[vgprValuC+55], acc124 // copy acc to vreg[31]
v_accvgpr_read_b32 v[vgprValuC+64], acc128 // copy acc to vreg[32]
v_accvgpr_read_b32 v[vgprValuC+65], acc132 // copy acc to vreg[33]
v_accvgpr_read_b32 v[vgprValuC+66], acc136 // copy acc to vreg[34]
v_accvgpr_read_b32 v[vgprValuC+67], acc140 // copy acc to vreg[35]
v_accvgpr_read_b32 v[vgprValuC+68], acc144 // copy acc to vreg[36]
v_accvgpr_read_b32 v[vgprValuC+69], acc148 // copy acc to vreg[37]
v_accvgpr_read_b32 v[vgprValuC+70], acc152 // copy acc to vreg[38]
v_accvgpr_read_b32 v[vgprValuC+71], acc156 // copy acc to vreg[39]
v_accvgpr_read_b32 v[vgprValuC+72], acc160 // copy acc to vreg[40]
v_accvgpr_read_b32 v[vgprValuC+73], acc164 // copy acc to vreg[41]
v_accvgpr_read_b32 v[vgprValuC+74], acc168 // copy acc to vreg[42]
v_accvgpr_read_b32 v[vgprValuC+75], acc172 // copy acc to vreg[43]
v_accvgpr_read_b32 v[vgprValuC+76], acc176 // copy acc to vreg[44]
v_accvgpr_read_b32 v[vgprValuC+77], acc180 // copy acc to vreg[45]
v_accvgpr_read_b32 v[vgprValuC+78], acc184 // copy acc to vreg[46]
v_accvgpr_read_b32 v[vgprValuC+79], acc188 // copy acc to vreg[47]
v_accvgpr_read_b32 v[vgprValuC+80], acc192 // copy acc to vreg[48]
v_accvgpr_read_b32 v[vgprValuC+81], acc196 // copy acc to vreg[49]
v_accvgpr_read_b32 v[vgprValuC+82], acc200 // copy acc to vreg[50]
v_accvgpr_read_b32 v[vgprValuC+83], acc204 // copy acc to vreg[51]
v_accvgpr_read_b32 v[vgprValuC+84], acc208 // copy acc to vreg[52]
v_accvgpr_read_b32 v[vgprValuC+85], acc212 // copy acc to vreg[53]
v_accvgpr_read_b32 v[vgprValuC+86], acc216 // copy acc to vreg[54]
v_accvgpr_read_b32 v[vgprValuC+87], acc220 // copy acc to vreg[55]
v_accvgpr_read_b32 v[vgprValuC+96], acc224 // copy acc to vreg[56]
v_accvgpr_read_b32 v[vgprValuC+97], acc228 // copy acc to vreg[57]
v_accvgpr_read_b32 v[vgprValuC+98], acc232 // copy acc to vreg[58]
v_accvgpr_read_b32 v[vgprValuC+99], acc236 // copy acc to vreg[59]
v_accvgpr_read_b32 v[vgprValuC+100], acc240 // copy acc to vreg[60]
v_accvgpr_read_b32 v[vgprValuC+101], acc244 // copy acc to vreg[61]
v_accvgpr_read_b32 v[vgprValuC+102], acc248 // copy acc to vreg[62]
v_accvgpr_read_b32 v[vgprValuC+103], acc252 // copy acc to vreg[63]
v_accvgpr_read_b32 v[vgprValuC+104], acc1 // copy acc to vreg[64]
v_accvgpr_read_b32 v[vgprValuC+105], acc5 // copy acc to vreg[65]
v_accvgpr_read_b32 v[vgprValuC+106], acc9 // copy acc to vreg[66]
v_accvgpr_read_b32 v[vgprValuC+107], acc13 // copy acc to vreg[67]
v_accvgpr_read_b32 v[vgprValuC+108], acc17 // copy acc to vreg[68]
v_accvgpr_read_b32 v[vgprValuC+109], acc21 // copy acc to vreg[69]
v_accvgpr_read_b32 v[vgprValuC+110], acc25 // copy acc to vreg[70]
v_accvgpr_read_b32 v[vgprValuC+111], acc29 // copy acc to vreg[71]
v_accvgpr_read_b32 v[vgprValuC+120], acc33 // copy acc to vreg[72]
v_accvgpr_read_b32 v[vgprValuC+121], acc37 // copy acc to vreg[73]
v_accvgpr_read_b32 v[vgprValuC+122], acc41 // copy acc to vreg[74]
v_accvgpr_read_b32 v[vgprValuC+123], acc45 // copy acc to vreg[75]
v_accvgpr_read_b32 v[vgprValuC+124], acc49 // copy acc to vreg[76]
v_accvgpr_read_b32 v[vgprValuC+125], acc53 // copy acc to vreg[77]
v_accvgpr_read_b32 v[vgprValuC+126], acc57 // copy acc to vreg[78]
v_accvgpr_read_b32 v[vgprValuC+127], acc61 // copy acc to vreg[79]
v_accvgpr_read_b32 v[vgprValuC+128], acc65 // copy acc to vreg[80]
v_accvgpr_read_b32 v[vgprValuC+129], acc69 // copy acc to vreg[81]
v_accvgpr_read_b32 v[vgprValuC+130], acc73 // copy acc to vreg[82]
v_accvgpr_read_b32 v[vgprValuC+131], acc77 // copy acc to vreg[83]
v_accvgpr_read_b32 v[vgprValuC+132], acc81 // copy acc to vreg[84]
v_accvgpr_read_b32 v[vgprValuC+133], acc85 // copy acc to vreg[85]
v_accvgpr_read_b32 v[vgprValuC+134], acc89 // copy acc to vreg[86]
v_accvgpr_read_b32 v[vgprValuC+135], acc93 // copy acc to vreg[87]
v_accvgpr_read_b32 v[vgprValuC+136], acc97 // copy acc to vreg[88]
v_accvgpr_read_b32 v[vgprValuC+137], acc101 // copy acc to vreg[89]
v_accvgpr_read_b32 v[vgprValuC+138], acc105 // copy acc to vreg[90]
v_accvgpr_read_b32 v[vgprValuC+139], acc109 // copy acc to vreg[91]
v_accvgpr_read_b32 v[vgprValuC+140], acc113 // copy acc to vreg[92]
v_accvgpr_read_b32 v[vgprValuC+141], acc117 // copy acc to vreg[93]
v_accvgpr_read_b32 v[vgprValuC+142], acc121 // copy acc to vreg[94]
v_accvgpr_read_b32 v[vgprValuC+143], acc125 // copy acc to vreg[95]
v_accvgpr_read_b32 v[vgprValuC+152], acc129 // copy acc to vreg[96]
v_accvgpr_read_b32 v[vgprValuC+153], acc133 // copy acc to vreg[97]
v_accvgpr_read_b32 v[vgprValuC+154], acc137 // copy acc to vreg[98]
v_accvgpr_read_b32 v[vgprValuC+155], acc141 // copy acc to vreg[99]
v_accvgpr_read_b32 v[vgprValuC+156], acc145 // copy acc to vreg[100]
v_accvgpr_read_b32 v[vgprValuC+157], acc149 // copy acc to vreg[101]
v_accvgpr_read_b32 v[vgprValuC+158], acc153 // copy acc to vreg[102]
v_accvgpr_read_b32 v[vgprValuC+159], acc157 // copy acc to vreg[103]
v_accvgpr_read_b32 v[vgprValuC+160], acc161 // copy acc to vreg[104]
v_accvgpr_read_b32 v[vgprValuC+161], acc165 // copy acc to vreg[105]
v_accvgpr_read_b32 v[vgprValuC+162], acc169 // copy acc to vreg[106]
v_accvgpr_read_b32 v[vgprValuC+163], acc173 // copy acc to vreg[107]
v_accvgpr_read_b32 v[vgprValuC+164], acc177 // copy acc to vreg[108]
v_accvgpr_read_b32 v[vgprValuC+165], acc181 // copy acc to vreg[109]
v_accvgpr_read_b32 v[vgprValuC+166], acc185 // copy acc to vreg[110]
v_accvgpr_read_b32 v[vgprValuC+167], acc189 // copy acc to vreg[111]
v_accvgpr_read_b32 v[vgprValuC+168], acc193 // copy acc to vreg[112]
v_accvgpr_read_b32 v[vgprValuC+169], acc197 // copy acc to vreg[113]
v_accvgpr_read_b32 v[vgprValuC+170], acc201 // copy acc to vreg[114]
v_accvgpr_read_b32 v[vgprValuC+171], acc205 // copy acc to vreg[115]
v_accvgpr_read_b32 v[vgprValuC+172], acc209 // copy acc to vreg[116]
v_accvgpr_read_b32 v[vgprValuC+173], acc213 // copy acc to vreg[117]
v_accvgpr_read_b32 v[vgprValuC+174], acc217 // copy acc to vreg[118]
v_accvgpr_read_b32 v[vgprValuC+175], acc221 // copy acc to vreg[119]
v_accvgpr_read_b32 v[vgprValuC+184], acc225 // copy acc to vreg[120]
v_accvgpr_read_b32 v[vgprValuC+185], acc229 // copy acc to vreg[121]
v_accvgpr_read_b32 v[vgprValuC+186], acc233 // copy acc to vreg[122]
v_accvgpr_read_b32 v[vgprValuC+187], acc237 // copy acc to vreg[123]
v_accvgpr_read_b32 v[vgprValuC+188], acc241 // copy acc to vreg[124]
v_accvgpr_read_b32 v[vgprValuC+189], acc245 // copy acc to vreg[125]
v_accvgpr_read_b32 v[vgprValuC+190], acc249 // copy acc to vreg[126]
v_accvgpr_read_b32 v[vgprValuC+191], acc253 // copy acc to vreg[127]
v_accvgpr_read_b32 v[vgprValuC+192], acc2 // copy acc to vreg[128]
v_accvgpr_read_b32 v[vgprValuC+193], acc6 // copy acc to vreg[129]
v_accvgpr_read_b32 v[vgprValuC+194], acc10 // copy acc to vreg[130]
v_accvgpr_read_b32 v[vgprValuC+195], acc14 // copy acc to vreg[131]
v_accvgpr_read_b32 v[vgprValuC+196], acc18 // copy acc to vreg[132]
v_accvgpr_read_b32 v[vgprValuC+197], acc22 // copy acc to vreg[133]
v_accvgpr_read_b32 v[vgprValuC+198], acc26 // copy acc to vreg[134]
v_accvgpr_read_b32 v[vgprValuC+199], acc30 // copy acc to vreg[135]
v_accvgpr_read_b32 v[vgprValuC+208], acc34 // copy acc to vreg[136]
v_accvgpr_read_b32 v[vgprValuC+209], acc38 // copy acc to vreg[137]
v_accvgpr_read_b32 v[vgprValuC+210], acc42 // copy acc to vreg[138]
v_accvgpr_read_b32 v[vgprValuC+211], acc46 // copy acc to vreg[139]
v_accvgpr_read_b32 v[vgprValuC+212], acc50 // copy acc to vreg[140]
v_accvgpr_read_b32 v[vgprValuC+213], acc54 // copy acc to vreg[141]
v_accvgpr_read_b32 v[vgprValuC+214], acc58 // copy acc to vreg[142]
v_accvgpr_read_b32 v[vgprValuC+215], acc62 // copy acc to vreg[143]
v_accvgpr_read_b32 v[vgprValuC+216], acc66 // copy acc to vreg[144]
v_accvgpr_read_b32 v[vgprValuC+217], acc70 // copy acc to vreg[145]
v_accvgpr_read_b32 v[vgprValuC+218], acc74 // copy acc to vreg[146]
v_accvgpr_read_b32 v[vgprValuC+219], acc78 // copy acc to vreg[147]
v_accvgpr_read_b32 v[vgprValuC+220], acc82 // copy acc to vreg[148]
v_accvgpr_read_b32 v[vgprValuC+221], acc86 // copy acc to vreg[149]
v_accvgpr_read_b32 v[vgprValuC+222], acc90 // copy acc to vreg[150]
v_accvgpr_read_b32 v[vgprValuC+223], acc94 // copy acc to vreg[151]
v_accvgpr_read_b32 v[vgprValuC+232], acc98 // copy acc to vreg[152]
v_accvgpr_read_b32 v[vgprValuC+233], acc102 // copy acc to vreg[153]
v_accvgpr_read_b32 v[vgprValuC+234], acc106 // copy acc to vreg[154]
v_accvgpr_read_b32 v[vgprValuC+235], acc110 // copy acc to vreg[155]
v_accvgpr_read_b32 v[vgprValuC+236], acc114 // copy acc to vreg[156]
v_accvgpr_read_b32 v[vgprValuC+237], acc118 // copy acc to vreg[157]
v_accvgpr_read_b32 v[vgprValuC+238], acc122 // copy acc to vreg[158]
v_accvgpr_read_b32 v[vgprValuC+239], acc126 // copy acc to vreg[159]
v_accvgpr_read_b32 v[vgprValuC+240], acc130 // copy acc to vreg[160]
v_accvgpr_read_b32 v[vgprValuC+241], acc134 // copy acc to vreg[161]
v_accvgpr_read_b32 v[vgprValuC+242], acc138 // copy acc to vreg[162]
v_accvgpr_read_b32 v[vgprValuC+243], acc142 // copy acc to vreg[163]
v_accvgpr_read_b32 v[vgprValuC+244], acc146 // copy acc to vreg[164]
v_accvgpr_read_b32 v[vgprValuC+245], acc150 // copy acc to vreg[165]
v_accvgpr_read_b32 v[vgprValuC+246], acc154 // copy acc to vreg[166]
v_accvgpr_read_b32 v[vgprValuC+247], acc158 // copy acc to vreg[167]
s_nop 1                                            // 2 wait states required before reading vgpr

/* rC *= alpha batchElements=[(0, 0, 0, 0), (0, 0, 1, 0), (0, 0, 2, 0), (0, 0, 3, 0), (0, 0, 4, 0), (0, 0, 5, 0), (0, 0, 6, 0), (0, 0, 7, 0), (0, 0, 8, 0), (0, 0, 9, 0), (0, 0, 10, 0), (0, 0, 11, 0), (0, 0, 12, 0), (0, 0, 13, 0), (0, 0, 14, 0), (0, 0, 15, 0), (0, 0, 16, 0), (0, 0, 17, 0), (0, 0, 18, 0), (0, 0, 19, 0), (0, 0, 20, 0)] */
v_mul_f32 v[vgprValuC+16], s[sgprAlpha], v[vgprValuC+16] // *= alpha
v_mul_f32 v[vgprValuC+17], s[sgprAlpha], v[vgprValuC+17] // *= alpha
	;; [unrolled: 1-line block ×168, first 2 shown]
s_waitcnt vmcnt(0)                                 // wait C

/* apply mask, calc new C and issue writes */
v_mov_b32 v10, 0x207                               // flag for Nan and +/- inf
v_mov_b32 v8, 0x47600000                           // save 57344.0f as max for clipping
v_mov_b32 v9, 0xC7600000                           // save -57344`.0f as min for clipping
V_cvt_pk_f32_bf8 v[6:7], v12    // convert two f8 in lo_16 to f32
_v_mac_f32 v[vgprValuC+16], v6, s[sgprBeta]        // finalSum = sum*alpha + C*beta
_v_mac_f32 v[vgprValuC+17], v7, s[sgprBeta]        // finalSum = sum*alpha + C*beta
V_cvt_pk_f32_bf8 v[6:7], v12  src0_sel:WORD_1  // convert two f8 in hi_16 to f32
_v_mac_f32 v[vgprValuC+18], v6, s[sgprBeta]        // finalSum = sum*alpha + C*beta
_v_mac_f32 v[vgprValuC+19], v7, s[sgprBeta]        // finalSum = sum*alpha + C*beta
V_cvt_pk_f32_bf8 v[6:7], v13    // convert two f8 in lo_16 to f32
_v_mac_f32 v[vgprValuC+20], v6, s[sgprBeta]        // finalSum = sum*alpha + C*beta
_v_mac_f32 v[vgprValuC+21], v7, s[sgprBeta]        // finalSum = sum*alpha + C*beta
V_cvt_pk_f32_bf8 v[6:7], v13  src0_sel:WORD_1  // convert two f8 in hi_16 to f32
_v_mac_f32 v[vgprValuC+22], v6, s[sgprBeta]        // finalSum = sum*alpha + C*beta
_v_mac_f32 v[vgprValuC+23], v7, s[sgprBeta]        // finalSum = sum*alpha + C*beta
v_cmp_class_f32 s[52:53], v[vgprValuC+16], v10     // check NaN and +/-INF
v_med3_f32 v6, v[vgprValuC+16], v8, v9             // Clipping f32 value if exceeds the limit
v_cndmask_b32 v6, v6, v[vgprValuC+16], s[52:53]    // 
v_cmp_class_f32 s[52:53], v[vgprValuC+17], v10     // check NaN and +/-INF
v_med3_f32 v7, v[vgprValuC+17], v8, v9             // Clipping f32 value if exceeds the limit
v_cndmask_b32 v7, v7, v[vgprValuC+17], s[52:53]    // 
v_cvt_pk_bf8_f32  v16, v6, v7 op_sel:[0,0,0]       // convert two f32 accumulated values to fp8 and save it to lo_16[0:15]
v_cmp_class_f32 s[52:53], v[vgprValuC+18], v10     // check NaN and +/-INF
v_med3_f32 v6, v[vgprValuC+18], v8, v9             // Clipping f32 value if exceeds the limit
v_cndmask_b32 v6, v6, v[vgprValuC+18], s[52:53]    // 
v_cmp_class_f32 s[52:53], v[vgprValuC+19], v10     // check NaN and +/-INF
v_med3_f32 v7, v[vgprValuC+19], v8, v9             // Clipping f32 value if exceeds the limit
v_cndmask_b32 v7, v7, v[vgprValuC+19], s[52:53]    // 
v_cvt_pk_bf8_f32  v16, v6, v7 op_sel:[0,0,1]       // convert two f32 accumulated values to fp8 and save it to hi_16[16:31]
v_cmp_class_f32 s[52:53], v[vgprValuC+20], v10     // check NaN and +/-INF
v_med3_f32 v6, v[vgprValuC+20], v8, v9             // Clipping f32 value if exceeds the limit
v_cndmask_b32 v6, v6, v[vgprValuC+20], s[52:53]    // 
v_cmp_class_f32 s[52:53], v[vgprValuC+21], v10     // check NaN and +/-INF
v_med3_f32 v7, v[vgprValuC+21], v8, v9             // Clipping f32 value if exceeds the limit
v_cndmask_b32 v7, v7, v[vgprValuC+21], s[52:53]    // 
v_cvt_pk_bf8_f32  v17, v6, v7 op_sel:[0,0,0]       // convert two f32 accumulated values to fp8 and save it to lo_16[0:15]
v_cmp_class_f32 s[52:53], v[vgprValuC+22], v10     // check NaN and +/-INF
v_med3_f32 v6, v[vgprValuC+22], v8, v9             // Clipping f32 value if exceeds the limit
v_cndmask_b32 v6, v6, v[vgprValuC+22], s[52:53]    // 
v_cmp_class_f32 s[52:53], v[vgprValuC+23], v10     // check NaN and +/-INF
v_med3_f32 v7, v[vgprValuC+23], v8, v9             // Clipping f32 value if exceeds the limit
v_cndmask_b32 v7, v7, v[vgprValuC+23], s[52:53]    // 
v_cvt_pk_bf8_f32  v17, v6, v7 op_sel:[0,0,1]       // convert two f32 accumulated values to fp8 and save it to hi_16[16:31]
_buffer_store_b64 v[16:17], v11, s[sgprSrdD:sgprSrdD+3], 0, offen, offset:0,  sc0 sc1 // store D
V_cvt_pk_f32_bf8 v[6:7], v24    // convert two f8 in lo_16 to f32
_v_mac_f32 v[vgprValuC+32], v6, s[sgprBeta]        // finalSum = sum*alpha + C*beta
_v_mac_f32 v[vgprValuC+33], v7, s[sgprBeta]        // finalSum = sum*alpha + C*beta
V_cvt_pk_f32_bf8 v[6:7], v24  src0_sel:WORD_1  // convert two f8 in hi_16 to f32
_v_mac_f32 v[vgprValuC+34], v6, s[sgprBeta]        // finalSum = sum*alpha + C*beta
_v_mac_f32 v[vgprValuC+35], v7, s[sgprBeta]        // finalSum = sum*alpha + C*beta
V_cvt_pk_f32_bf8 v[6:7], v25    // convert two f8 in lo_16 to f32
_v_mac_f32 v[vgprValuC+36], v6, s[sgprBeta]        // finalSum = sum*alpha + C*beta
_v_mac_f32 v[vgprValuC+37], v7, s[sgprBeta]        // finalSum = sum*alpha + C*beta
V_cvt_pk_f32_bf8 v[6:7], v25  src0_sel:WORD_1  // convert two f8 in hi_16 to f32
_v_mac_f32 v[vgprValuC+38], v6, s[sgprBeta]        // finalSum = sum*alpha + C*beta
_v_mac_f32 v[vgprValuC+39], v7, s[sgprBeta]        // finalSum = sum*alpha + C*beta
v_cmp_class_f32 s[52:53], v[vgprValuC+32], v10     // check NaN and +/-INF
v_med3_f32 v6, v[vgprValuC+32], v8, v9             // Clipping f32 value if exceeds the limit
v_cndmask_b32 v6, v6, v[vgprValuC+32], s[52:53]    // 
v_cmp_class_f32 s[52:53], v[vgprValuC+33], v10     // check NaN and +/-INF
v_med3_f32 v7, v[vgprValuC+33], v8, v9             // Clipping f32 value if exceeds the limit
v_cndmask_b32 v7, v7, v[vgprValuC+33], s[52:53]    // 
v_cvt_pk_bf8_f32  v32, v6, v7 op_sel:[0,0,0]       // convert two f32 accumulated values to fp8 and save it to lo_16[0:15]
v_cmp_class_f32 s[52:53], v[vgprValuC+34], v10     // check NaN and +/-INF
v_med3_f32 v6, v[vgprValuC+34], v8, v9             // Clipping f32 value if exceeds the limit
v_cndmask_b32 v6, v6, v[vgprValuC+34], s[52:53]    // 
v_cmp_class_f32 s[52:53], v[vgprValuC+35], v10     // check NaN and +/-INF
v_med3_f32 v7, v[vgprValuC+35], v8, v9             // Clipping f32 value if exceeds the limit
v_cndmask_b32 v7, v7, v[vgprValuC+35], s[52:53]    // 
v_cvt_pk_bf8_f32  v32, v6, v7 op_sel:[0,0,1]       // convert two f32 accumulated values to fp8 and save it to hi_16[16:31]
v_cmp_class_f32 s[52:53], v[vgprValuC+36], v10     // check NaN and +/-INF
v_med3_f32 v6, v[vgprValuC+36], v8, v9             // Clipping f32 value if exceeds the limit
v_cndmask_b32 v6, v6, v[vgprValuC+36], s[52:53]    // 
v_cmp_class_f32 s[52:53], v[vgprValuC+37], v10     // check NaN and +/-INF
v_med3_f32 v7, v[vgprValuC+37], v8, v9             // Clipping f32 value if exceeds the limit
v_cndmask_b32 v7, v7, v[vgprValuC+37], s[52:53]    // 
v_cvt_pk_bf8_f32  v33, v6, v7 op_sel:[0,0,0]       // convert two f32 accumulated values to fp8 and save it to lo_16[0:15]
v_cmp_class_f32 s[52:53], v[vgprValuC+38], v10     // check NaN and +/-INF
v_med3_f32 v6, v[vgprValuC+38], v8, v9             // Clipping f32 value if exceeds the limit
v_cndmask_b32 v6, v6, v[vgprValuC+38], s[52:53]    // 
v_cmp_class_f32 s[52:53], v[vgprValuC+39], v10     // check NaN and +/-INF
v_med3_f32 v7, v[vgprValuC+39], v8, v9             // Clipping f32 value if exceeds the limit
v_cndmask_b32 v7, v7, v[vgprValuC+39], s[52:53]    // 
v_cvt_pk_bf8_f32  v33, v6, v7 op_sel:[0,0,1]       // convert two f32 accumulated values to fp8 and save it to hi_16[16:31]
_buffer_store_b64 v[32:33], v14, s[sgprSrdD:sgprSrdD+3], 0, offen, offset:0,  sc0 sc1 // store D
	;; [unrolled: 41-line block ×7, first 2 shown]
V_cvt_pk_f32_bf8 v[6:7], v90    // convert two f8 in lo_16 to f32
_v_mac_f32 v[vgprValuC+96], v6, s[sgprBeta]        // finalSum = sum*alpha + C*beta
_v_mac_f32 v[vgprValuC+97], v7, s[sgprBeta]        // finalSum = sum*alpha + C*beta
V_cvt_pk_f32_bf8 v[6:7], v90  src0_sel:WORD_1  // convert two f8 in hi_16 to f32
_v_mac_f32 v[vgprValuC+98], v6, s[sgprBeta]        // finalSum = sum*alpha + C*beta
_v_mac_f32 v[vgprValuC+99], v7, s[sgprBeta]        // finalSum = sum*alpha + C*beta
V_cvt_pk_f32_bf8 v[6:7], v91    // convert two f8 in lo_16 to f32
_v_mac_f32 v[vgprValuC+100], v6, s[sgprBeta]       // finalSum = sum*alpha + C*beta
_v_mac_f32 v[vgprValuC+101], v7, s[sgprBeta]       // finalSum = sum*alpha + C*beta
V_cvt_pk_f32_bf8 v[6:7], v91  src0_sel:WORD_1  // convert two f8 in hi_16 to f32
_v_mac_f32 v[vgprValuC+102], v6, s[sgprBeta]       // finalSum = sum*alpha + C*beta
_v_mac_f32 v[vgprValuC+103], v7, s[sgprBeta]       // finalSum = sum*alpha + C*beta
v_cmp_class_f32 s[52:53], v[vgprValuC+96], v10     // check NaN and +/-INF
v_med3_f32 v6, v[vgprValuC+96], v8, v9             // Clipping f32 value if exceeds the limit
v_cndmask_b32 v6, v6, v[vgprValuC+96], s[52:53]    // 
v_cmp_class_f32 s[52:53], v[vgprValuC+97], v10     // check NaN and +/-INF
v_med3_f32 v7, v[vgprValuC+97], v8, v9             // Clipping f32 value if exceeds the limit
v_cndmask_b32 v7, v7, v[vgprValuC+97], s[52:53]    // 
v_cvt_pk_bf8_f32  v96, v6, v7 op_sel:[0,0,0]       // convert two f32 accumulated values to fp8 and save it to lo_16[0:15]
v_cmp_class_f32 s[52:53], v[vgprValuC+98], v10     // check NaN and +/-INF
v_med3_f32 v6, v[vgprValuC+98], v8, v9             // Clipping f32 value if exceeds the limit
v_cndmask_b32 v6, v6, v[vgprValuC+98], s[52:53]    // 
v_cmp_class_f32 s[52:53], v[vgprValuC+99], v10     // check NaN and +/-INF
v_med3_f32 v7, v[vgprValuC+99], v8, v9             // Clipping f32 value if exceeds the limit
v_cndmask_b32 v7, v7, v[vgprValuC+99], s[52:53]    // 
v_cvt_pk_bf8_f32  v96, v6, v7 op_sel:[0,0,1]       // convert two f32 accumulated values to fp8 and save it to hi_16[16:31]
v_cmp_class_f32 s[52:53], v[vgprValuC+100], v10    // check NaN and +/-INF
v_med3_f32 v6, v[vgprValuC+100], v8, v9            // Clipping f32 value if exceeds the limit
v_cndmask_b32 v6, v6, v[vgprValuC+100], s[52:53]   // 
v_cmp_class_f32 s[52:53], v[vgprValuC+101], v10    // check NaN and +/-INF
v_med3_f32 v7, v[vgprValuC+101], v8, v9            // Clipping f32 value if exceeds the limit
v_cndmask_b32 v7, v7, v[vgprValuC+101], s[52:53]   // 
v_cvt_pk_bf8_f32  v97, v6, v7 op_sel:[0,0,0]       // convert two f32 accumulated values to fp8 and save it to lo_16[0:15]
v_cmp_class_f32 s[52:53], v[vgprValuC+102], v10    // check NaN and +/-INF
v_med3_f32 v6, v[vgprValuC+102], v8, v9            // Clipping f32 value if exceeds the limit
v_cndmask_b32 v6, v6, v[vgprValuC+102], s[52:53]   // 
v_cmp_class_f32 s[52:53], v[vgprValuC+103], v10    // check NaN and +/-INF
v_med3_f32 v7, v[vgprValuC+103], v8, v9            // Clipping f32 value if exceeds the limit
v_cndmask_b32 v7, v7, v[vgprValuC+103], s[52:53]   // 
v_cvt_pk_bf8_f32  v97, v6, v7 op_sel:[0,0,1]       // convert two f32 accumulated values to fp8 and save it to hi_16[16:31]
_buffer_store_b64 v[96:97], v88, s[sgprSrdD:sgprSrdD+3], 0, offen, offset:0,  sc0 sc1 // store D
V_cvt_pk_f32_bf8 v[6:7], v92    // convert two f8 in lo_16 to f32
_v_mac_f32 v[vgprValuC+104], v6, s[sgprBeta]       // finalSum = sum*alpha + C*beta
_v_mac_f32 v[vgprValuC+105], v7, s[sgprBeta]       // finalSum = sum*alpha + C*beta
V_cvt_pk_f32_bf8 v[6:7], v92  src0_sel:WORD_1  // convert two f8 in hi_16 to f32
_v_mac_f32 v[vgprValuC+106], v6, s[sgprBeta]       // finalSum = sum*alpha + C*beta
_v_mac_f32 v[vgprValuC+107], v7, s[sgprBeta]       // finalSum = sum*alpha + C*beta
V_cvt_pk_f32_bf8 v[6:7], v93    // convert two f8 in lo_16 to f32
_v_mac_f32 v[vgprValuC+108], v6, s[sgprBeta]       // finalSum = sum*alpha + C*beta
_v_mac_f32 v[vgprValuC+109], v7, s[sgprBeta]       // finalSum = sum*alpha + C*beta
V_cvt_pk_f32_bf8 v[6:7], v93  src0_sel:WORD_1  // convert two f8 in hi_16 to f32
_v_mac_f32 v[vgprValuC+110], v6, s[sgprBeta]       // finalSum = sum*alpha + C*beta
_v_mac_f32 v[vgprValuC+111], v7, s[sgprBeta]       // finalSum = sum*alpha + C*beta
v_cmp_class_f32 s[52:53], v[vgprValuC+104], v10    // check NaN and +/-INF
v_med3_f32 v6, v[vgprValuC+104], v8, v9            // Clipping f32 value if exceeds the limit
v_cndmask_b32 v6, v6, v[vgprValuC+104], s[52:53]   // 
v_cmp_class_f32 s[52:53], v[vgprValuC+105], v10    // check NaN and +/-INF
v_med3_f32 v7, v[vgprValuC+105], v8, v9            // Clipping f32 value if exceeds the limit
v_cndmask_b32 v7, v7, v[vgprValuC+105], s[52:53]   // 
v_cvt_pk_bf8_f32  v104, v6, v7 op_sel:[0,0,0]      // convert two f32 accumulated values to fp8 and save it to lo_16[0:15]
v_cmp_class_f32 s[52:53], v[vgprValuC+106], v10    // check NaN and +/-INF
v_med3_f32 v6, v[vgprValuC+106], v8, v9            // Clipping f32 value if exceeds the limit
v_cndmask_b32 v6, v6, v[vgprValuC+106], s[52:53]   // 
v_cmp_class_f32 s[52:53], v[vgprValuC+107], v10    // check NaN and +/-INF
v_med3_f32 v7, v[vgprValuC+107], v8, v9            // Clipping f32 value if exceeds the limit
v_cndmask_b32 v7, v7, v[vgprValuC+107], s[52:53]   // 
v_cvt_pk_bf8_f32  v104, v6, v7 op_sel:[0,0,1]      // convert two f32 accumulated values to fp8 and save it to hi_16[16:31]
v_cmp_class_f32 s[52:53], v[vgprValuC+108], v10    // check NaN and +/-INF
v_med3_f32 v6, v[vgprValuC+108], v8, v9            // Clipping f32 value if exceeds the limit
v_cndmask_b32 v6, v6, v[vgprValuC+108], s[52:53]   // 
v_cmp_class_f32 s[52:53], v[vgprValuC+109], v10    // check NaN and +/-INF
v_med3_f32 v7, v[vgprValuC+109], v8, v9            // Clipping f32 value if exceeds the limit
v_cndmask_b32 v7, v7, v[vgprValuC+109], s[52:53]   // 
v_cvt_pk_bf8_f32  v105, v6, v7 op_sel:[0,0,0]      // convert two f32 accumulated values to fp8 and save it to lo_16[0:15]
v_cmp_class_f32 s[52:53], v[vgprValuC+110], v10    // check NaN and +/-INF
v_med3_f32 v6, v[vgprValuC+110], v8, v9            // Clipping f32 value if exceeds the limit
v_cndmask_b32 v6, v6, v[vgprValuC+110], s[52:53]   // 
v_cmp_class_f32 s[52:53], v[vgprValuC+111], v10    // check NaN and +/-INF
v_med3_f32 v7, v[vgprValuC+111], v8, v9            // Clipping f32 value if exceeds the limit
v_cndmask_b32 v7, v7, v[vgprValuC+111], s[52:53]   // 
v_cvt_pk_bf8_f32  v105, v6, v7 op_sel:[0,0,1]      // convert two f32 accumulated values to fp8 and save it to hi_16[16:31]
_buffer_store_b64 v[104:105], v89, s[sgprSrdD:sgprSrdD+3], 0, offen, offset:0,  sc0 sc1 // store D
V_cvt_pk_f32_bf8 v[6:7], v112    // convert two f8 in lo_16 to f32
_v_mac_f32 v[vgprValuC+120], v6, s[sgprBeta]       // finalSum = sum*alpha + C*beta
_v_mac_f32 v[vgprValuC+121], v7, s[sgprBeta]       // finalSum = sum*alpha + C*beta
V_cvt_pk_f32_bf8 v[6:7], v112  src0_sel:WORD_1  // convert two f8 in hi_16 to f32
_v_mac_f32 v[vgprValuC+122], v6, s[sgprBeta]       // finalSum = sum*alpha + C*beta
_v_mac_f32 v[vgprValuC+123], v7, s[sgprBeta]       // finalSum = sum*alpha + C*beta
V_cvt_pk_f32_bf8 v[6:7], v113    // convert two f8 in lo_16 to f32
_v_mac_f32 v[vgprValuC+124], v6, s[sgprBeta]       // finalSum = sum*alpha + C*beta
_v_mac_f32 v[vgprValuC+125], v7, s[sgprBeta]       // finalSum = sum*alpha + C*beta
V_cvt_pk_f32_bf8 v[6:7], v113  src0_sel:WORD_1  // convert two f8 in hi_16 to f32
_v_mac_f32 v[vgprValuC+126], v6, s[sgprBeta]       // finalSum = sum*alpha + C*beta
_v_mac_f32 v[vgprValuC+127], v7, s[sgprBeta]       // finalSum = sum*alpha + C*beta
v_cmp_class_f32 s[52:53], v[vgprValuC+120], v10    // check NaN and +/-INF
v_med3_f32 v6, v[vgprValuC+120], v8, v9            // Clipping f32 value if exceeds the limit
v_cndmask_b32 v6, v6, v[vgprValuC+120], s[52:53]   // 
v_cmp_class_f32 s[52:53], v[vgprValuC+121], v10    // check NaN and +/-INF
v_med3_f32 v7, v[vgprValuC+121], v8, v9            // Clipping f32 value if exceeds the limit
v_cndmask_b32 v7, v7, v[vgprValuC+121], s[52:53]   // 
v_cvt_pk_bf8_f32  v120, v6, v7 op_sel:[0,0,0]      // convert two f32 accumulated values to fp8 and save it to lo_16[0:15]
v_cmp_class_f32 s[52:53], v[vgprValuC+122], v10    // check NaN and +/-INF
v_med3_f32 v6, v[vgprValuC+122], v8, v9            // Clipping f32 value if exceeds the limit
v_cndmask_b32 v6, v6, v[vgprValuC+122], s[52:53]   // 
v_cmp_class_f32 s[52:53], v[vgprValuC+123], v10    // check NaN and +/-INF
v_med3_f32 v7, v[vgprValuC+123], v8, v9            // Clipping f32 value if exceeds the limit
v_cndmask_b32 v7, v7, v[vgprValuC+123], s[52:53]   // 
v_cvt_pk_bf8_f32  v120, v6, v7 op_sel:[0,0,1]      // convert two f32 accumulated values to fp8 and save it to hi_16[16:31]
v_cmp_class_f32 s[52:53], v[vgprValuC+124], v10    // check NaN and +/-INF
v_med3_f32 v6, v[vgprValuC+124], v8, v9            // Clipping f32 value if exceeds the limit
v_cndmask_b32 v6, v6, v[vgprValuC+124], s[52:53]   // 
v_cmp_class_f32 s[52:53], v[vgprValuC+125], v10    // check NaN and +/-INF
v_med3_f32 v7, v[vgprValuC+125], v8, v9            // Clipping f32 value if exceeds the limit
v_cndmask_b32 v7, v7, v[vgprValuC+125], s[52:53]   // 
v_cvt_pk_bf8_f32  v121, v6, v7 op_sel:[0,0,0]      // convert two f32 accumulated values to fp8 and save it to lo_16[0:15]
v_cmp_class_f32 s[52:53], v[vgprValuC+126], v10    // check NaN and +/-INF
v_med3_f32 v6, v[vgprValuC+126], v8, v9            // Clipping f32 value if exceeds the limit
v_cndmask_b32 v6, v6, v[vgprValuC+126], s[52:53]   // 
v_cmp_class_f32 s[52:53], v[vgprValuC+127], v10    // check NaN and +/-INF
v_med3_f32 v7, v[vgprValuC+127], v8, v9            // Clipping f32 value if exceeds the limit
v_cndmask_b32 v7, v7, v[vgprValuC+127], s[52:53]   // 
v_cvt_pk_bf8_f32  v121, v6, v7 op_sel:[0,0,1]      // convert two f32 accumulated values to fp8 and save it to hi_16[16:31]
	;; [unrolled: 41-line block ×13, first 2 shown]
_buffer_store_b64 v[240:241], v205, s[sgprSrdD:sgprSrdD+3], 0, offen, offset:0,  sc0 sc1 // store D
s_nop 0                                            // 1 wait state required when next inst writes vgprs held by previous dwordx4 store inst
/* optSingleColVgpr=0 optSharedColVgpr=0 optSGPRUsage=BufferLoad_Edge_Mask optSrdIncForRow=0 */

/******************************************/
/* Global Write Alpha Beta Edge Batch #1 (d1,d0,vc1,vc0) = */
/*    (0,0,21,0:vw8); (0,0,22,0:vw8); (0,0,23,0:vw8); (0,0,24,0:vw8); (0,0,25,0:vw8); (0,0,26,0:vw8); (0,0,27,0:vw8); (0,0,28,0:vw8); (0,0,29,0:vw8); (0,0,30,0:vw8); (0,0,31,0:vw8) */
/******************************************/

/* calc coords, apply mask, and issue loads (if necessary) */
/* (d1,vc1,d0,vc0)=(0,21,0,0) */
_v_add_co_u32 v1, vcc, v1, 1                       // coord1.1: coord1Vgpr += d1*sg1*VW + vc1

/* Fix for UseInitialStridesCD, emitAddressSetupCode */
_v_add_u32 v2, v2, s[sgprStrideC1J]                // ROWINC- Move cinRowPtr to next row
_v_add_u32 v3, v3, s[sgprStrideD1J]                // Move coutRowPtr to next row
v_cmp_lt_u32 s[52:53], v0, s[sgprSizeI]            // coord0 < size0
v_cmp_lt_u32 s[56:57], v1, s[sgprSizeJ]            // coord1 < size1
s_and_b64 s[56:57], s[52:53], s[56:57]             // in0 && in1
_v_add_lshl_u32 v11, v2, v0, 0x0                   // scaleToBpe: accumulate d0 lower and *= bpe into Cin addr
v_cndmask_b32 v11, -1, v11, s[56:57]               // LDC clip if OOB. offset
_buffer_load_b64 v[12:13], v11, s[sgprSrdC:sgprSrdC+3], 0, offen offset:0,  sc0 sc1 // load C for beta calc
_v_add_lshl_u32 v11, v3, v0, 0x0                   // scaleToBpe: accumulate d0 lower and *= bpe into Cin addr
v_cndmask_b32 v11, -1, v11, s[56:57]               // LDD clip if OOB. offset
/* (d1,vc1,d0,vc0)=(0,22,0,0) */
_v_add_co_u32 v1, vcc, v1, 1                       // coord1.1: coord1Vgpr += d1*sg1*VW + vc1

/* Fix for UseInitialStridesCD, emitAddressSetupCode */
_v_add_u32 v2, v2, s[sgprStrideC1J]                // ROWINC- Move cinRowPtr to next row
_v_add_u32 v3, v3, s[sgprStrideD1J]                // Move coutRowPtr to next row
v_cmp_lt_u32 s[52:53], v0, s[sgprSizeI]            // coord0 < size0
v_cmp_lt_u32 s[56:57], v1, s[sgprSizeJ]            // coord1 < size1
s_and_b64 s[56:57], s[52:53], s[56:57]             // in0 && in1
_v_add_lshl_u32 v14, v2, v0, 0x0                   // scaleToBpe: accumulate d0 lower and *= bpe into Cin addr
v_cndmask_b32 v14, -1, v14, s[56:57]               // LDC clip if OOB. offset
_buffer_load_b64 v[24:25], v14, s[sgprSrdC:sgprSrdC+3], 0, offen offset:0,  sc0 sc1 // load C for beta calc
_v_add_lshl_u32 v14, v3, v0, 0x0                   // scaleToBpe: accumulate d0 lower and *= bpe into Cin addr
v_cndmask_b32 v14, -1, v14, s[56:57]               // LDD clip if OOB. offset
	;; [unrolled: 14-line block ×11, first 2 shown]
v_accvgpr_read_b32 v[vgprValuC+16], acc162 // copy acc to vreg[168]
v_accvgpr_read_b32 v[vgprValuC+17], acc166 // copy acc to vreg[169]
v_accvgpr_read_b32 v[vgprValuC+18], acc170 // copy acc to vreg[170]
v_accvgpr_read_b32 v[vgprValuC+19], acc174 // copy acc to vreg[171]
v_accvgpr_read_b32 v[vgprValuC+20], acc178 // copy acc to vreg[172]
v_accvgpr_read_b32 v[vgprValuC+21], acc182 // copy acc to vreg[173]
v_accvgpr_read_b32 v[vgprValuC+22], acc186 // copy acc to vreg[174]
v_accvgpr_read_b32 v[vgprValuC+23], acc190 // copy acc to vreg[175]
v_accvgpr_read_b32 v[vgprValuC+32], acc194 // copy acc to vreg[176]
v_accvgpr_read_b32 v[vgprValuC+33], acc198 // copy acc to vreg[177]
v_accvgpr_read_b32 v[vgprValuC+34], acc202 // copy acc to vreg[178]
v_accvgpr_read_b32 v[vgprValuC+35], acc206 // copy acc to vreg[179]
v_accvgpr_read_b32 v[vgprValuC+36], acc210 // copy acc to vreg[180]
v_accvgpr_read_b32 v[vgprValuC+37], acc214 // copy acc to vreg[181]
v_accvgpr_read_b32 v[vgprValuC+38], acc218 // copy acc to vreg[182]
v_accvgpr_read_b32 v[vgprValuC+39], acc222 // copy acc to vreg[183]
v_accvgpr_read_b32 v[vgprValuC+40], acc226 // copy acc to vreg[184]
v_accvgpr_read_b32 v[vgprValuC+41], acc230 // copy acc to vreg[185]
v_accvgpr_read_b32 v[vgprValuC+42], acc234 // copy acc to vreg[186]
v_accvgpr_read_b32 v[vgprValuC+43], acc238 // copy acc to vreg[187]
v_accvgpr_read_b32 v[vgprValuC+44], acc242 // copy acc to vreg[188]
v_accvgpr_read_b32 v[vgprValuC+45], acc246 // copy acc to vreg[189]
v_accvgpr_read_b32 v[vgprValuC+46], acc250 // copy acc to vreg[190]
v_accvgpr_read_b32 v[vgprValuC+47], acc254 // copy acc to vreg[191]
v_accvgpr_read_b32 v[vgprValuC+48], acc3 // copy acc to vreg[192]
v_accvgpr_read_b32 v[vgprValuC+49], acc7 // copy acc to vreg[193]
v_accvgpr_read_b32 v[vgprValuC+50], acc11 // copy acc to vreg[194]
v_accvgpr_read_b32 v[vgprValuC+51], acc15 // copy acc to vreg[195]
v_accvgpr_read_b32 v[vgprValuC+52], acc19 // copy acc to vreg[196]
v_accvgpr_read_b32 v[vgprValuC+53], acc23 // copy acc to vreg[197]
v_accvgpr_read_b32 v[vgprValuC+54], acc27 // copy acc to vreg[198]
v_accvgpr_read_b32 v[vgprValuC+55], acc31 // copy acc to vreg[199]
v_accvgpr_read_b32 v[vgprValuC+64], acc35 // copy acc to vreg[200]
v_accvgpr_read_b32 v[vgprValuC+65], acc39 // copy acc to vreg[201]
v_accvgpr_read_b32 v[vgprValuC+66], acc43 // copy acc to vreg[202]
v_accvgpr_read_b32 v[vgprValuC+67], acc47 // copy acc to vreg[203]
v_accvgpr_read_b32 v[vgprValuC+68], acc51 // copy acc to vreg[204]
v_accvgpr_read_b32 v[vgprValuC+69], acc55 // copy acc to vreg[205]
v_accvgpr_read_b32 v[vgprValuC+70], acc59 // copy acc to vreg[206]
v_accvgpr_read_b32 v[vgprValuC+71], acc63 // copy acc to vreg[207]
v_accvgpr_read_b32 v[vgprValuC+72], acc67 // copy acc to vreg[208]
v_accvgpr_read_b32 v[vgprValuC+73], acc71 // copy acc to vreg[209]
v_accvgpr_read_b32 v[vgprValuC+74], acc75 // copy acc to vreg[210]
v_accvgpr_read_b32 v[vgprValuC+75], acc79 // copy acc to vreg[211]
v_accvgpr_read_b32 v[vgprValuC+76], acc83 // copy acc to vreg[212]
v_accvgpr_read_b32 v[vgprValuC+77], acc87 // copy acc to vreg[213]
v_accvgpr_read_b32 v[vgprValuC+78], acc91 // copy acc to vreg[214]
v_accvgpr_read_b32 v[vgprValuC+79], acc95 // copy acc to vreg[215]
v_accvgpr_read_b32 v[vgprValuC+80], acc99 // copy acc to vreg[216]
v_accvgpr_read_b32 v[vgprValuC+81], acc103 // copy acc to vreg[217]
v_accvgpr_read_b32 v[vgprValuC+82], acc107 // copy acc to vreg[218]
v_accvgpr_read_b32 v[vgprValuC+83], acc111 // copy acc to vreg[219]
v_accvgpr_read_b32 v[vgprValuC+84], acc115 // copy acc to vreg[220]
v_accvgpr_read_b32 v[vgprValuC+85], acc119 // copy acc to vreg[221]
v_accvgpr_read_b32 v[vgprValuC+86], acc123 // copy acc to vreg[222]
v_accvgpr_read_b32 v[vgprValuC+87], acc127 // copy acc to vreg[223]
v_accvgpr_read_b32 v[vgprValuC+96], acc131 // copy acc to vreg[224]
v_accvgpr_read_b32 v[vgprValuC+97], acc135 // copy acc to vreg[225]
v_accvgpr_read_b32 v[vgprValuC+98], acc139 // copy acc to vreg[226]
v_accvgpr_read_b32 v[vgprValuC+99], acc143 // copy acc to vreg[227]
v_accvgpr_read_b32 v[vgprValuC+100], acc147 // copy acc to vreg[228]
v_accvgpr_read_b32 v[vgprValuC+101], acc151 // copy acc to vreg[229]
v_accvgpr_read_b32 v[vgprValuC+102], acc155 // copy acc to vreg[230]
v_accvgpr_read_b32 v[vgprValuC+103], acc159 // copy acc to vreg[231]
v_accvgpr_read_b32 v[vgprValuC+104], acc163 // copy acc to vreg[232]
v_accvgpr_read_b32 v[vgprValuC+105], acc167 // copy acc to vreg[233]
v_accvgpr_read_b32 v[vgprValuC+106], acc171 // copy acc to vreg[234]
v_accvgpr_read_b32 v[vgprValuC+107], acc175 // copy acc to vreg[235]
v_accvgpr_read_b32 v[vgprValuC+108], acc179 // copy acc to vreg[236]
v_accvgpr_read_b32 v[vgprValuC+109], acc183 // copy acc to vreg[237]
v_accvgpr_read_b32 v[vgprValuC+110], acc187 // copy acc to vreg[238]
v_accvgpr_read_b32 v[vgprValuC+111], acc191 // copy acc to vreg[239]
v_accvgpr_read_b32 v[vgprValuC+120], acc195 // copy acc to vreg[240]
v_accvgpr_read_b32 v[vgprValuC+121], acc199 // copy acc to vreg[241]
v_accvgpr_read_b32 v[vgprValuC+122], acc203 // copy acc to vreg[242]
v_accvgpr_read_b32 v[vgprValuC+123], acc207 // copy acc to vreg[243]
v_accvgpr_read_b32 v[vgprValuC+124], acc211 // copy acc to vreg[244]
v_accvgpr_read_b32 v[vgprValuC+125], acc215 // copy acc to vreg[245]
v_accvgpr_read_b32 v[vgprValuC+126], acc219 // copy acc to vreg[246]
v_accvgpr_read_b32 v[vgprValuC+127], acc223 // copy acc to vreg[247]
v_accvgpr_read_b32 v[vgprValuC+128], acc227 // copy acc to vreg[248]
v_accvgpr_read_b32 v[vgprValuC+129], acc231 // copy acc to vreg[249]
v_accvgpr_read_b32 v[vgprValuC+130], acc235 // copy acc to vreg[250]
v_accvgpr_read_b32 v[vgprValuC+131], acc239 // copy acc to vreg[251]
v_accvgpr_read_b32 v[vgprValuC+132], acc243 // copy acc to vreg[252]
v_accvgpr_read_b32 v[vgprValuC+133], acc247 // copy acc to vreg[253]
v_accvgpr_read_b32 v[vgprValuC+134], acc251 // copy acc to vreg[254]
v_accvgpr_read_b32 v[vgprValuC+135], acc255 // copy acc to vreg[255]
s_nop 1                                            // 2 wait states required before reading vgpr

/* rC *= alpha batchElements=[(0, 0, 21, 0), (0, 0, 22, 0), (0, 0, 23, 0), (0, 0, 24, 0), (0, 0, 25, 0), (0, 0, 26, 0), (0, 0, 27, 0), (0, 0, 28, 0), (0, 0, 29, 0), (0, 0, 30, 0), (0, 0, 31, 0)] */
v_mul_f32 v[vgprValuC+16], s[sgprAlpha], v[vgprValuC+16] // *= alpha
v_mul_f32 v[vgprValuC+17], s[sgprAlpha], v[vgprValuC+17] // *= alpha
	;; [unrolled: 1-line block ×88, first 2 shown]
s_waitcnt vmcnt(0)                                 // wait C

/* apply mask, calc new C and issue writes */
v_mov_b32 v10, 0x207                               // flag for Nan and +/- inf
v_mov_b32 v8, 0x47600000                           // save 57344.0f as max for clipping
v_mov_b32 v9, 0xC7600000                           // save -57344`.0f as min for clipping
V_cvt_pk_f32_bf8 v[6:7], v12    // convert two f8 in lo_16 to f32
_v_mac_f32 v[vgprValuC+16], v6, s[sgprBeta]        // finalSum = sum*alpha + C*beta
_v_mac_f32 v[vgprValuC+17], v7, s[sgprBeta]        // finalSum = sum*alpha + C*beta
V_cvt_pk_f32_bf8 v[6:7], v12  src0_sel:WORD_1  // convert two f8 in hi_16 to f32
_v_mac_f32 v[vgprValuC+18], v6, s[sgprBeta]        // finalSum = sum*alpha + C*beta
_v_mac_f32 v[vgprValuC+19], v7, s[sgprBeta]        // finalSum = sum*alpha + C*beta
V_cvt_pk_f32_bf8 v[6:7], v13    // convert two f8 in lo_16 to f32
_v_mac_f32 v[vgprValuC+20], v6, s[sgprBeta]        // finalSum = sum*alpha + C*beta
_v_mac_f32 v[vgprValuC+21], v7, s[sgprBeta]        // finalSum = sum*alpha + C*beta
V_cvt_pk_f32_bf8 v[6:7], v13  src0_sel:WORD_1  // convert two f8 in hi_16 to f32
_v_mac_f32 v[vgprValuC+22], v6, s[sgprBeta]        // finalSum = sum*alpha + C*beta
_v_mac_f32 v[vgprValuC+23], v7, s[sgprBeta]        // finalSum = sum*alpha + C*beta
v_cmp_class_f32 s[52:53], v[vgprValuC+16], v10     // check NaN and +/-INF
v_med3_f32 v6, v[vgprValuC+16], v8, v9             // Clipping f32 value if exceeds the limit
v_cndmask_b32 v6, v6, v[vgprValuC+16], s[52:53]    // 
v_cmp_class_f32 s[52:53], v[vgprValuC+17], v10     // check NaN and +/-INF
v_med3_f32 v7, v[vgprValuC+17], v8, v9             // Clipping f32 value if exceeds the limit
v_cndmask_b32 v7, v7, v[vgprValuC+17], s[52:53]    // 
v_cvt_pk_bf8_f32  v16, v6, v7 op_sel:[0,0,0]       // convert two f32 accumulated values to fp8 and save it to lo_16[0:15]
v_cmp_class_f32 s[52:53], v[vgprValuC+18], v10     // check NaN and +/-INF
v_med3_f32 v6, v[vgprValuC+18], v8, v9             // Clipping f32 value if exceeds the limit
v_cndmask_b32 v6, v6, v[vgprValuC+18], s[52:53]    // 
v_cmp_class_f32 s[52:53], v[vgprValuC+19], v10     // check NaN and +/-INF
v_med3_f32 v7, v[vgprValuC+19], v8, v9             // Clipping f32 value if exceeds the limit
v_cndmask_b32 v7, v7, v[vgprValuC+19], s[52:53]    // 
v_cvt_pk_bf8_f32  v16, v6, v7 op_sel:[0,0,1]       // convert two f32 accumulated values to fp8 and save it to hi_16[16:31]
v_cmp_class_f32 s[52:53], v[vgprValuC+20], v10     // check NaN and +/-INF
v_med3_f32 v6, v[vgprValuC+20], v8, v9             // Clipping f32 value if exceeds the limit
v_cndmask_b32 v6, v6, v[vgprValuC+20], s[52:53]    // 
v_cmp_class_f32 s[52:53], v[vgprValuC+21], v10     // check NaN and +/-INF
v_med3_f32 v7, v[vgprValuC+21], v8, v9             // Clipping f32 value if exceeds the limit
v_cndmask_b32 v7, v7, v[vgprValuC+21], s[52:53]    // 
v_cvt_pk_bf8_f32  v17, v6, v7 op_sel:[0,0,0]       // convert two f32 accumulated values to fp8 and save it to lo_16[0:15]
v_cmp_class_f32 s[52:53], v[vgprValuC+22], v10     // check NaN and +/-INF
v_med3_f32 v6, v[vgprValuC+22], v8, v9             // Clipping f32 value if exceeds the limit
v_cndmask_b32 v6, v6, v[vgprValuC+22], s[52:53]    // 
v_cmp_class_f32 s[52:53], v[vgprValuC+23], v10     // check NaN and +/-INF
v_med3_f32 v7, v[vgprValuC+23], v8, v9             // Clipping f32 value if exceeds the limit
v_cndmask_b32 v7, v7, v[vgprValuC+23], s[52:53]    // 
v_cvt_pk_bf8_f32  v17, v6, v7 op_sel:[0,0,1]       // convert two f32 accumulated values to fp8 and save it to hi_16[16:31]
_buffer_store_b64 v[16:17], v11, s[sgprSrdD:sgprSrdD+3], 0, offen, offset:0,  sc0 sc1 // store D
V_cvt_pk_f32_bf8 v[6:7], v24    // convert two f8 in lo_16 to f32
_v_mac_f32 v[vgprValuC+32], v6, s[sgprBeta]        // finalSum = sum*alpha + C*beta
_v_mac_f32 v[vgprValuC+33], v7, s[sgprBeta]        // finalSum = sum*alpha + C*beta
V_cvt_pk_f32_bf8 v[6:7], v24  src0_sel:WORD_1  // convert two f8 in hi_16 to f32
_v_mac_f32 v[vgprValuC+34], v6, s[sgprBeta]        // finalSum = sum*alpha + C*beta
_v_mac_f32 v[vgprValuC+35], v7, s[sgprBeta]        // finalSum = sum*alpha + C*beta
V_cvt_pk_f32_bf8 v[6:7], v25    // convert two f8 in lo_16 to f32
_v_mac_f32 v[vgprValuC+36], v6, s[sgprBeta]        // finalSum = sum*alpha + C*beta
_v_mac_f32 v[vgprValuC+37], v7, s[sgprBeta]        // finalSum = sum*alpha + C*beta
V_cvt_pk_f32_bf8 v[6:7], v25  src0_sel:WORD_1  // convert two f8 in hi_16 to f32
_v_mac_f32 v[vgprValuC+38], v6, s[sgprBeta]        // finalSum = sum*alpha + C*beta
_v_mac_f32 v[vgprValuC+39], v7, s[sgprBeta]        // finalSum = sum*alpha + C*beta
v_cmp_class_f32 s[52:53], v[vgprValuC+32], v10     // check NaN and +/-INF
v_med3_f32 v6, v[vgprValuC+32], v8, v9             // Clipping f32 value if exceeds the limit
v_cndmask_b32 v6, v6, v[vgprValuC+32], s[52:53]    // 
v_cmp_class_f32 s[52:53], v[vgprValuC+33], v10     // check NaN and +/-INF
v_med3_f32 v7, v[vgprValuC+33], v8, v9             // Clipping f32 value if exceeds the limit
v_cndmask_b32 v7, v7, v[vgprValuC+33], s[52:53]    // 
v_cvt_pk_bf8_f32  v32, v6, v7 op_sel:[0,0,0]       // convert two f32 accumulated values to fp8 and save it to lo_16[0:15]
v_cmp_class_f32 s[52:53], v[vgprValuC+34], v10     // check NaN and +/-INF
v_med3_f32 v6, v[vgprValuC+34], v8, v9             // Clipping f32 value if exceeds the limit
v_cndmask_b32 v6, v6, v[vgprValuC+34], s[52:53]    // 
v_cmp_class_f32 s[52:53], v[vgprValuC+35], v10     // check NaN and +/-INF
v_med3_f32 v7, v[vgprValuC+35], v8, v9             // Clipping f32 value if exceeds the limit
v_cndmask_b32 v7, v7, v[vgprValuC+35], s[52:53]    // 
v_cvt_pk_bf8_f32  v32, v6, v7 op_sel:[0,0,1]       // convert two f32 accumulated values to fp8 and save it to hi_16[16:31]
v_cmp_class_f32 s[52:53], v[vgprValuC+36], v10     // check NaN and +/-INF
v_med3_f32 v6, v[vgprValuC+36], v8, v9             // Clipping f32 value if exceeds the limit
v_cndmask_b32 v6, v6, v[vgprValuC+36], s[52:53]    // 
v_cmp_class_f32 s[52:53], v[vgprValuC+37], v10     // check NaN and +/-INF
v_med3_f32 v7, v[vgprValuC+37], v8, v9             // Clipping f32 value if exceeds the limit
v_cndmask_b32 v7, v7, v[vgprValuC+37], s[52:53]    // 
v_cvt_pk_bf8_f32  v33, v6, v7 op_sel:[0,0,0]       // convert two f32 accumulated values to fp8 and save it to lo_16[0:15]
v_cmp_class_f32 s[52:53], v[vgprValuC+38], v10     // check NaN and +/-INF
v_med3_f32 v6, v[vgprValuC+38], v8, v9             // Clipping f32 value if exceeds the limit
v_cndmask_b32 v6, v6, v[vgprValuC+38], s[52:53]    // 
v_cmp_class_f32 s[52:53], v[vgprValuC+39], v10     // check NaN and +/-INF
v_med3_f32 v7, v[vgprValuC+39], v8, v9             // Clipping f32 value if exceeds the limit
v_cndmask_b32 v7, v7, v[vgprValuC+39], s[52:53]    // 
v_cvt_pk_bf8_f32  v33, v6, v7 op_sel:[0,0,1]       // convert two f32 accumulated values to fp8 and save it to hi_16[16:31]
_buffer_store_b64 v[32:33], v14, s[sgprSrdD:sgprSrdD+3], 0, offen, offset:0,  sc0 sc1 // store D
	;; [unrolled: 41-line block ×7, first 2 shown]
V_cvt_pk_f32_bf8 v[6:7], v90    // convert two f8 in lo_16 to f32
_v_mac_f32 v[vgprValuC+96], v6, s[sgprBeta]        // finalSum = sum*alpha + C*beta
_v_mac_f32 v[vgprValuC+97], v7, s[sgprBeta]        // finalSum = sum*alpha + C*beta
V_cvt_pk_f32_bf8 v[6:7], v90  src0_sel:WORD_1  // convert two f8 in hi_16 to f32
_v_mac_f32 v[vgprValuC+98], v6, s[sgprBeta]        // finalSum = sum*alpha + C*beta
_v_mac_f32 v[vgprValuC+99], v7, s[sgprBeta]        // finalSum = sum*alpha + C*beta
V_cvt_pk_f32_bf8 v[6:7], v91    // convert two f8 in lo_16 to f32
_v_mac_f32 v[vgprValuC+100], v6, s[sgprBeta]       // finalSum = sum*alpha + C*beta
_v_mac_f32 v[vgprValuC+101], v7, s[sgprBeta]       // finalSum = sum*alpha + C*beta
V_cvt_pk_f32_bf8 v[6:7], v91  src0_sel:WORD_1  // convert two f8 in hi_16 to f32
_v_mac_f32 v[vgprValuC+102], v6, s[sgprBeta]       // finalSum = sum*alpha + C*beta
_v_mac_f32 v[vgprValuC+103], v7, s[sgprBeta]       // finalSum = sum*alpha + C*beta
v_cmp_class_f32 s[52:53], v[vgprValuC+96], v10     // check NaN and +/-INF
v_med3_f32 v6, v[vgprValuC+96], v8, v9             // Clipping f32 value if exceeds the limit
v_cndmask_b32 v6, v6, v[vgprValuC+96], s[52:53]    // 
v_cmp_class_f32 s[52:53], v[vgprValuC+97], v10     // check NaN and +/-INF
v_med3_f32 v7, v[vgprValuC+97], v8, v9             // Clipping f32 value if exceeds the limit
v_cndmask_b32 v7, v7, v[vgprValuC+97], s[52:53]    // 
v_cvt_pk_bf8_f32  v96, v6, v7 op_sel:[0,0,0]       // convert two f32 accumulated values to fp8 and save it to lo_16[0:15]
v_cmp_class_f32 s[52:53], v[vgprValuC+98], v10     // check NaN and +/-INF
v_med3_f32 v6, v[vgprValuC+98], v8, v9             // Clipping f32 value if exceeds the limit
v_cndmask_b32 v6, v6, v[vgprValuC+98], s[52:53]    // 
v_cmp_class_f32 s[52:53], v[vgprValuC+99], v10     // check NaN and +/-INF
v_med3_f32 v7, v[vgprValuC+99], v8, v9             // Clipping f32 value if exceeds the limit
v_cndmask_b32 v7, v7, v[vgprValuC+99], s[52:53]    // 
v_cvt_pk_bf8_f32  v96, v6, v7 op_sel:[0,0,1]       // convert two f32 accumulated values to fp8 and save it to hi_16[16:31]
v_cmp_class_f32 s[52:53], v[vgprValuC+100], v10    // check NaN and +/-INF
v_med3_f32 v6, v[vgprValuC+100], v8, v9            // Clipping f32 value if exceeds the limit
v_cndmask_b32 v6, v6, v[vgprValuC+100], s[52:53]   // 
v_cmp_class_f32 s[52:53], v[vgprValuC+101], v10    // check NaN and +/-INF
v_med3_f32 v7, v[vgprValuC+101], v8, v9            // Clipping f32 value if exceeds the limit
v_cndmask_b32 v7, v7, v[vgprValuC+101], s[52:53]   // 
v_cvt_pk_bf8_f32  v97, v6, v7 op_sel:[0,0,0]       // convert two f32 accumulated values to fp8 and save it to lo_16[0:15]
v_cmp_class_f32 s[52:53], v[vgprValuC+102], v10    // check NaN and +/-INF
v_med3_f32 v6, v[vgprValuC+102], v8, v9            // Clipping f32 value if exceeds the limit
v_cndmask_b32 v6, v6, v[vgprValuC+102], s[52:53]   // 
v_cmp_class_f32 s[52:53], v[vgprValuC+103], v10    // check NaN and +/-INF
v_med3_f32 v7, v[vgprValuC+103], v8, v9            // Clipping f32 value if exceeds the limit
v_cndmask_b32 v7, v7, v[vgprValuC+103], s[52:53]   // 
v_cvt_pk_bf8_f32  v97, v6, v7 op_sel:[0,0,1]       // convert two f32 accumulated values to fp8 and save it to hi_16[16:31]
_buffer_store_b64 v[96:97], v88, s[sgprSrdD:sgprSrdD+3], 0, offen, offset:0,  sc0 sc1 // store D
V_cvt_pk_f32_bf8 v[6:7], v92    // convert two f8 in lo_16 to f32
_v_mac_f32 v[vgprValuC+104], v6, s[sgprBeta]       // finalSum = sum*alpha + C*beta
_v_mac_f32 v[vgprValuC+105], v7, s[sgprBeta]       // finalSum = sum*alpha + C*beta
V_cvt_pk_f32_bf8 v[6:7], v92  src0_sel:WORD_1  // convert two f8 in hi_16 to f32
_v_mac_f32 v[vgprValuC+106], v6, s[sgprBeta]       // finalSum = sum*alpha + C*beta
_v_mac_f32 v[vgprValuC+107], v7, s[sgprBeta]       // finalSum = sum*alpha + C*beta
V_cvt_pk_f32_bf8 v[6:7], v93    // convert two f8 in lo_16 to f32
_v_mac_f32 v[vgprValuC+108], v6, s[sgprBeta]       // finalSum = sum*alpha + C*beta
_v_mac_f32 v[vgprValuC+109], v7, s[sgprBeta]       // finalSum = sum*alpha + C*beta
V_cvt_pk_f32_bf8 v[6:7], v93  src0_sel:WORD_1  // convert two f8 in hi_16 to f32
_v_mac_f32 v[vgprValuC+110], v6, s[sgprBeta]       // finalSum = sum*alpha + C*beta
_v_mac_f32 v[vgprValuC+111], v7, s[sgprBeta]       // finalSum = sum*alpha + C*beta
v_cmp_class_f32 s[52:53], v[vgprValuC+104], v10    // check NaN and +/-INF
v_med3_f32 v6, v[vgprValuC+104], v8, v9            // Clipping f32 value if exceeds the limit
v_cndmask_b32 v6, v6, v[vgprValuC+104], s[52:53]   // 
v_cmp_class_f32 s[52:53], v[vgprValuC+105], v10    // check NaN and +/-INF
v_med3_f32 v7, v[vgprValuC+105], v8, v9            // Clipping f32 value if exceeds the limit
v_cndmask_b32 v7, v7, v[vgprValuC+105], s[52:53]   // 
v_cvt_pk_bf8_f32  v104, v6, v7 op_sel:[0,0,0]      // convert two f32 accumulated values to fp8 and save it to lo_16[0:15]
v_cmp_class_f32 s[52:53], v[vgprValuC+106], v10    // check NaN and +/-INF
v_med3_f32 v6, v[vgprValuC+106], v8, v9            // Clipping f32 value if exceeds the limit
v_cndmask_b32 v6, v6, v[vgprValuC+106], s[52:53]   // 
v_cmp_class_f32 s[52:53], v[vgprValuC+107], v10    // check NaN and +/-INF
v_med3_f32 v7, v[vgprValuC+107], v8, v9            // Clipping f32 value if exceeds the limit
v_cndmask_b32 v7, v7, v[vgprValuC+107], s[52:53]   // 
v_cvt_pk_bf8_f32  v104, v6, v7 op_sel:[0,0,1]      // convert two f32 accumulated values to fp8 and save it to hi_16[16:31]
v_cmp_class_f32 s[52:53], v[vgprValuC+108], v10    // check NaN and +/-INF
v_med3_f32 v6, v[vgprValuC+108], v8, v9            // Clipping f32 value if exceeds the limit
v_cndmask_b32 v6, v6, v[vgprValuC+108], s[52:53]   // 
v_cmp_class_f32 s[52:53], v[vgprValuC+109], v10    // check NaN and +/-INF
v_med3_f32 v7, v[vgprValuC+109], v8, v9            // Clipping f32 value if exceeds the limit
v_cndmask_b32 v7, v7, v[vgprValuC+109], s[52:53]   // 
v_cvt_pk_bf8_f32  v105, v6, v7 op_sel:[0,0,0]      // convert two f32 accumulated values to fp8 and save it to lo_16[0:15]
v_cmp_class_f32 s[52:53], v[vgprValuC+110], v10    // check NaN and +/-INF
v_med3_f32 v6, v[vgprValuC+110], v8, v9            // Clipping f32 value if exceeds the limit
v_cndmask_b32 v6, v6, v[vgprValuC+110], s[52:53]   // 
v_cmp_class_f32 s[52:53], v[vgprValuC+111], v10    // check NaN and +/-INF
v_med3_f32 v7, v[vgprValuC+111], v8, v9            // Clipping f32 value if exceeds the limit
v_cndmask_b32 v7, v7, v[vgprValuC+111], s[52:53]   // 
v_cvt_pk_bf8_f32  v105, v6, v7 op_sel:[0,0,1]      // convert two f32 accumulated values to fp8 and save it to hi_16[16:31]
_buffer_store_b64 v[104:105], v89, s[sgprSrdD:sgprSrdD+3], 0, offen, offset:0,  sc0 sc1 // store D
V_cvt_pk_f32_bf8 v[6:7], v112    // convert two f8 in lo_16 to f32
_v_mac_f32 v[vgprValuC+120], v6, s[sgprBeta]       // finalSum = sum*alpha + C*beta
_v_mac_f32 v[vgprValuC+121], v7, s[sgprBeta]       // finalSum = sum*alpha + C*beta
V_cvt_pk_f32_bf8 v[6:7], v112  src0_sel:WORD_1  // convert two f8 in hi_16 to f32
_v_mac_f32 v[vgprValuC+122], v6, s[sgprBeta]       // finalSum = sum*alpha + C*beta
_v_mac_f32 v[vgprValuC+123], v7, s[sgprBeta]       // finalSum = sum*alpha + C*beta
V_cvt_pk_f32_bf8 v[6:7], v113    // convert two f8 in lo_16 to f32
_v_mac_f32 v[vgprValuC+124], v6, s[sgprBeta]       // finalSum = sum*alpha + C*beta
_v_mac_f32 v[vgprValuC+125], v7, s[sgprBeta]       // finalSum = sum*alpha + C*beta
V_cvt_pk_f32_bf8 v[6:7], v113  src0_sel:WORD_1  // convert two f8 in hi_16 to f32
_v_mac_f32 v[vgprValuC+126], v6, s[sgprBeta]       // finalSum = sum*alpha + C*beta
_v_mac_f32 v[vgprValuC+127], v7, s[sgprBeta]       // finalSum = sum*alpha + C*beta
v_cmp_class_f32 s[52:53], v[vgprValuC+120], v10    // check NaN and +/-INF
v_med3_f32 v6, v[vgprValuC+120], v8, v9            // Clipping f32 value if exceeds the limit
v_cndmask_b32 v6, v6, v[vgprValuC+120], s[52:53]   // 
v_cmp_class_f32 s[52:53], v[vgprValuC+121], v10    // check NaN and +/-INF
v_med3_f32 v7, v[vgprValuC+121], v8, v9            // Clipping f32 value if exceeds the limit
v_cndmask_b32 v7, v7, v[vgprValuC+121], s[52:53]   // 
v_cvt_pk_bf8_f32  v120, v6, v7 op_sel:[0,0,0]      // convert two f32 accumulated values to fp8 and save it to lo_16[0:15]
v_cmp_class_f32 s[52:53], v[vgprValuC+122], v10    // check NaN and +/-INF
v_med3_f32 v6, v[vgprValuC+122], v8, v9            // Clipping f32 value if exceeds the limit
v_cndmask_b32 v6, v6, v[vgprValuC+122], s[52:53]   // 
v_cmp_class_f32 s[52:53], v[vgprValuC+123], v10    // check NaN and +/-INF
v_med3_f32 v7, v[vgprValuC+123], v8, v9            // Clipping f32 value if exceeds the limit
v_cndmask_b32 v7, v7, v[vgprValuC+123], s[52:53]   // 
v_cvt_pk_bf8_f32  v120, v6, v7 op_sel:[0,0,1]      // convert two f32 accumulated values to fp8 and save it to hi_16[16:31]
v_cmp_class_f32 s[52:53], v[vgprValuC+124], v10    // check NaN and +/-INF
v_med3_f32 v6, v[vgprValuC+124], v8, v9            // Clipping f32 value if exceeds the limit
v_cndmask_b32 v6, v6, v[vgprValuC+124], s[52:53]   // 
v_cmp_class_f32 s[52:53], v[vgprValuC+125], v10    // check NaN and +/-INF
v_med3_f32 v7, v[vgprValuC+125], v8, v9            // Clipping f32 value if exceeds the limit
v_cndmask_b32 v7, v7, v[vgprValuC+125], s[52:53]   // 
v_cvt_pk_bf8_f32  v121, v6, v7 op_sel:[0,0,0]      // convert two f32 accumulated values to fp8 and save it to lo_16[0:15]
v_cmp_class_f32 s[52:53], v[vgprValuC+126], v10    // check NaN and +/-INF
v_med3_f32 v6, v[vgprValuC+126], v8, v9            // Clipping f32 value if exceeds the limit
v_cndmask_b32 v6, v6, v[vgprValuC+126], s[52:53]   // 
v_cmp_class_f32 s[52:53], v[vgprValuC+127], v10    // check NaN and +/-INF
v_med3_f32 v7, v[vgprValuC+127], v8, v9            // Clipping f32 value if exceeds the limit
v_cndmask_b32 v7, v7, v[vgprValuC+127], s[52:53]   // 
v_cvt_pk_bf8_f32  v121, v6, v7 op_sel:[0,0,1]      // convert two f32 accumulated values to fp8 and save it to hi_16[16:31]
	;; [unrolled: 41-line block ×3, first 2 shown]
_buffer_store_b64 v[128:129], v95, s[sgprSrdD:sgprSrdD+3], 0, offen, offset:0,  sc0 sc1 // store D
s_nop 0                                            // 1 wait state required when next inst writes vgprs held by previous dwordx4 store inst
s_branch label_GW_End_48                           // jump to end
label_GW_End_48:

label_0053:  /// KernelEnd
s_endpgm                                           // Kernel End

